;; amdgpu-corpus repo=ROCm/rocSPARSE kind=compiled arch=gfx1100 opt=O3
	.text
	.amdgcn_target "amdgcn-amd-amdhsa--gfx1100"
	.amdhsa_code_object_version 6
	.section	.text._ZN9rocsparseL26bsrpad_value_kernel_sortedILi1024EfEEviiiT0_21rocsparse_index_base_PS1_PKiS5_,"axG",@progbits,_ZN9rocsparseL26bsrpad_value_kernel_sortedILi1024EfEEviiiT0_21rocsparse_index_base_PS1_PKiS5_,comdat
	.globl	_ZN9rocsparseL26bsrpad_value_kernel_sortedILi1024EfEEviiiT0_21rocsparse_index_base_PS1_PKiS5_ ; -- Begin function _ZN9rocsparseL26bsrpad_value_kernel_sortedILi1024EfEEviiiT0_21rocsparse_index_base_PS1_PKiS5_
	.p2align	8
	.type	_ZN9rocsparseL26bsrpad_value_kernel_sortedILi1024EfEEviiiT0_21rocsparse_index_base_PS1_PKiS5_,@function
_ZN9rocsparseL26bsrpad_value_kernel_sortedILi1024EfEEviiiT0_21rocsparse_index_base_PS1_PKiS5_: ; @_ZN9rocsparseL26bsrpad_value_kernel_sortedILi1024EfEEviiiT0_21rocsparse_index_base_PS1_PKiS5_
; %bb.0:
	s_clause 0x2
	s_load_b128 s[4:7], s[0:1], 0x0
	s_load_b64 s[2:3], s[0:1], 0x20
	s_load_b32 s8, s[0:1], 0x10
	s_waitcnt lgkmcnt(0)
	s_ashr_i32 s11, s5, 31
	s_mov_b32 s10, s5
	s_delay_alu instid0(SALU_CYCLE_1) | instskip(NEXT) | instid1(SALU_CYCLE_1)
	s_lshl_b64 s[10:11], s[10:11], 2
	s_add_u32 s2, s2, s10
	s_addc_u32 s3, s3, s11
	s_add_u32 s2, s2, -4
	s_addc_u32 s3, s3, -1
	s_load_b64 s[2:3], s[2:3], 0x0
	s_waitcnt lgkmcnt(0)
	s_sub_i32 s2, s3, s2
	s_delay_alu instid0(SALU_CYCLE_1)
	s_cmp_lt_i32 s2, 1
	s_mov_b32 s2, -1
	s_cbranch_scc1 .LBB0_2
; %bb.1:
	s_load_b64 s[10:11], s[0:1], 0x28
	s_sub_i32 s2, s3, s8
	s_add_i32 s5, s5, -1
	s_ashr_i32 s3, s2, 31
	s_add_i32 s9, s2, -1
	s_lshl_b64 s[12:13], s[2:3], 2
	s_waitcnt lgkmcnt(0)
	s_add_u32 s2, s10, s12
	s_addc_u32 s3, s11, s13
	s_add_u32 s2, s2, -4
	s_addc_u32 s3, s3, -1
	s_load_b32 s2, s[2:3], 0x0
	s_waitcnt lgkmcnt(0)
	s_sub_i32 s2, s2, s8
	s_delay_alu instid0(SALU_CYCLE_1)
	s_cmp_eq_u32 s2, s5
	s_cselect_b32 s2, s9, -1
.LBB0_2:
	v_lshl_or_b32 v0, s15, 10, v0
	s_cmp_gt_i32 s2, -1
	s_cselect_b32 s3, -1, 0
	s_delay_alu instid0(VALU_DEP_1) | instskip(SKIP_1) | instid1(SALU_CYCLE_1)
	v_cmp_gt_i32_e32 vcc_lo, s6, v0
	s_and_b32 s3, s3, vcc_lo
	s_and_saveexec_b32 s5, s3
	s_cbranch_execz .LBB0_5
; %bb.3:
	s_abs_i32 s3, s6
	s_abs_i32 s9, s4
	v_cvt_f32_u32_e32 v1, s3
	s_sub_i32 s8, 0, s3
	s_ashr_i32 s4, s4, 31
	s_delay_alu instid0(VALU_DEP_1) | instskip(SKIP_2) | instid1(VALU_DEP_1)
	v_rcp_iflag_f32_e32 v1, v1
	s_waitcnt_depctr 0xfff
	v_mul_f32_e32 v1, 0x4f7ffffe, v1
	v_cvt_u32_f32_e32 v1, v1
	s_delay_alu instid0(VALU_DEP_1) | instskip(NEXT) | instid1(VALU_DEP_1)
	v_readfirstlane_b32 s5, v1
	s_mul_i32 s8, s8, s5
	s_delay_alu instid0(SALU_CYCLE_1) | instskip(NEXT) | instid1(SALU_CYCLE_1)
	s_mul_hi_u32 s8, s5, s8
	s_add_i32 s5, s5, s8
	s_delay_alu instid0(SALU_CYCLE_1) | instskip(NEXT) | instid1(SALU_CYCLE_1)
	s_mul_hi_u32 s5, s9, s5
	s_mul_i32 s5, s5, s3
	s_delay_alu instid0(SALU_CYCLE_1) | instskip(NEXT) | instid1(SALU_CYCLE_1)
	s_sub_i32 s5, s9, s5
	s_sub_i32 s8, s5, s3
	s_cmp_ge_u32 s5, s3
	s_cselect_b32 s5, s8, s5
	s_delay_alu instid0(SALU_CYCLE_1) | instskip(SKIP_2) | instid1(SALU_CYCLE_1)
	s_sub_i32 s8, s5, s3
	s_cmp_ge_u32 s5, s3
	s_cselect_b32 s3, s8, s5
	s_xor_b32 s3, s3, s4
	s_delay_alu instid0(SALU_CYCLE_1) | instskip(NEXT) | instid1(SALU_CYCLE_1)
	s_sub_i32 s3, s3, s4
	v_cmp_le_i32_e32 vcc_lo, s3, v0
	s_cmp_gt_i32 s3, 0
	s_cselect_b32 s3, -1, 0
	s_delay_alu instid0(SALU_CYCLE_1) | instskip(NEXT) | instid1(SALU_CYCLE_1)
	s_and_b32 s3, s3, vcc_lo
	s_and_b32 exec_lo, exec_lo, s3
	s_cbranch_execz .LBB0_5
; %bb.4:
	v_mad_u64_u32 v[1:2], null, s2, s6, v[0:1]
	s_load_b64 s[0:1], s[0:1], 0x18
	s_delay_alu instid0(VALU_DEP_1) | instskip(NEXT) | instid1(VALU_DEP_1)
	v_mad_u64_u32 v[2:3], null, v1, s6, v[0:1]
	v_ashrrev_i32_e32 v3, 31, v2
	s_delay_alu instid0(VALU_DEP_1) | instskip(SKIP_2) | instid1(VALU_DEP_2)
	v_lshlrev_b64 v[0:1], 2, v[2:3]
	v_mov_b32_e32 v2, s7
	s_waitcnt lgkmcnt(0)
	v_add_co_u32 v0, vcc_lo, s0, v0
	s_delay_alu instid0(VALU_DEP_3)
	v_add_co_ci_u32_e32 v1, vcc_lo, s1, v1, vcc_lo
	global_store_b32 v[0:1], v2, off
.LBB0_5:
	s_nop 0
	s_sendmsg sendmsg(MSG_DEALLOC_VGPRS)
	s_endpgm
	.section	.rodata,"a",@progbits
	.p2align	6, 0x0
	.amdhsa_kernel _ZN9rocsparseL26bsrpad_value_kernel_sortedILi1024EfEEviiiT0_21rocsparse_index_base_PS1_PKiS5_
		.amdhsa_group_segment_fixed_size 0
		.amdhsa_private_segment_fixed_size 0
		.amdhsa_kernarg_size 48
		.amdhsa_user_sgpr_count 15
		.amdhsa_user_sgpr_dispatch_ptr 0
		.amdhsa_user_sgpr_queue_ptr 0
		.amdhsa_user_sgpr_kernarg_segment_ptr 1
		.amdhsa_user_sgpr_dispatch_id 0
		.amdhsa_user_sgpr_private_segment_size 0
		.amdhsa_wavefront_size32 1
		.amdhsa_uses_dynamic_stack 0
		.amdhsa_enable_private_segment 0
		.amdhsa_system_sgpr_workgroup_id_x 1
		.amdhsa_system_sgpr_workgroup_id_y 0
		.amdhsa_system_sgpr_workgroup_id_z 0
		.amdhsa_system_sgpr_workgroup_info 0
		.amdhsa_system_vgpr_workitem_id 0
		.amdhsa_next_free_vgpr 4
		.amdhsa_next_free_sgpr 16
		.amdhsa_reserve_vcc 1
		.amdhsa_float_round_mode_32 0
		.amdhsa_float_round_mode_16_64 0
		.amdhsa_float_denorm_mode_32 3
		.amdhsa_float_denorm_mode_16_64 3
		.amdhsa_dx10_clamp 1
		.amdhsa_ieee_mode 1
		.amdhsa_fp16_overflow 0
		.amdhsa_workgroup_processor_mode 1
		.amdhsa_memory_ordered 1
		.amdhsa_forward_progress 0
		.amdhsa_shared_vgpr_count 0
		.amdhsa_exception_fp_ieee_invalid_op 0
		.amdhsa_exception_fp_denorm_src 0
		.amdhsa_exception_fp_ieee_div_zero 0
		.amdhsa_exception_fp_ieee_overflow 0
		.amdhsa_exception_fp_ieee_underflow 0
		.amdhsa_exception_fp_ieee_inexact 0
		.amdhsa_exception_int_div_zero 0
	.end_amdhsa_kernel
	.section	.text._ZN9rocsparseL26bsrpad_value_kernel_sortedILi1024EfEEviiiT0_21rocsparse_index_base_PS1_PKiS5_,"axG",@progbits,_ZN9rocsparseL26bsrpad_value_kernel_sortedILi1024EfEEviiiT0_21rocsparse_index_base_PS1_PKiS5_,comdat
.Lfunc_end0:
	.size	_ZN9rocsparseL26bsrpad_value_kernel_sortedILi1024EfEEviiiT0_21rocsparse_index_base_PS1_PKiS5_, .Lfunc_end0-_ZN9rocsparseL26bsrpad_value_kernel_sortedILi1024EfEEviiiT0_21rocsparse_index_base_PS1_PKiS5_
                                        ; -- End function
	.section	.AMDGPU.csdata,"",@progbits
; Kernel info:
; codeLenInByte = 452
; NumSgprs: 18
; NumVgprs: 4
; ScratchSize: 0
; MemoryBound: 0
; FloatMode: 240
; IeeeMode: 1
; LDSByteSize: 0 bytes/workgroup (compile time only)
; SGPRBlocks: 2
; VGPRBlocks: 0
; NumSGPRsForWavesPerEU: 18
; NumVGPRsForWavesPerEU: 4
; Occupancy: 16
; WaveLimiterHint : 1
; COMPUTE_PGM_RSRC2:SCRATCH_EN: 0
; COMPUTE_PGM_RSRC2:USER_SGPR: 15
; COMPUTE_PGM_RSRC2:TRAP_HANDLER: 0
; COMPUTE_PGM_RSRC2:TGID_X_EN: 1
; COMPUTE_PGM_RSRC2:TGID_Y_EN: 0
; COMPUTE_PGM_RSRC2:TGID_Z_EN: 0
; COMPUTE_PGM_RSRC2:TIDIG_COMP_CNT: 0
	.section	.text._ZN9rocsparseL28bsrpad_value_kernel_unsortedILi1024EfEEviiiT0_21rocsparse_index_base_PS1_PKiS5_,"axG",@progbits,_ZN9rocsparseL28bsrpad_value_kernel_unsortedILi1024EfEEviiiT0_21rocsparse_index_base_PS1_PKiS5_,comdat
	.globl	_ZN9rocsparseL28bsrpad_value_kernel_unsortedILi1024EfEEviiiT0_21rocsparse_index_base_PS1_PKiS5_ ; -- Begin function _ZN9rocsparseL28bsrpad_value_kernel_unsortedILi1024EfEEviiiT0_21rocsparse_index_base_PS1_PKiS5_
	.p2align	8
	.type	_ZN9rocsparseL28bsrpad_value_kernel_unsortedILi1024EfEEviiiT0_21rocsparse_index_base_PS1_PKiS5_,@function
_ZN9rocsparseL28bsrpad_value_kernel_unsortedILi1024EfEEviiiT0_21rocsparse_index_base_PS1_PKiS5_: ; @_ZN9rocsparseL28bsrpad_value_kernel_unsortedILi1024EfEEviiiT0_21rocsparse_index_base_PS1_PKiS5_
; %bb.0:
	s_load_b64 s[2:3], s[0:1], 0x20
	s_mov_b32 s4, exec_lo
	v_cmpx_eq_u32_e32 0, v0
	s_cbranch_execz .LBB1_2
; %bb.1:
	v_dual_mov_b32 v1, -1 :: v_dual_mov_b32 v2, 0
	ds_store_b32 v2, v1
.LBB1_2:
	s_or_b32 exec_lo, exec_lo, s4
	s_clause 0x1
	s_load_b128 s[4:7], s[0:1], 0x0
	s_load_b32 s8, s[0:1], 0x10
	s_waitcnt lgkmcnt(0)
	s_ashr_i32 s11, s5, 31
	s_mov_b32 s10, s5
	v_subrev_nc_u32_e32 v1, s8, v0
	s_lshl_b64 s[10:11], s[10:11], 2
	s_delay_alu instid0(SALU_CYCLE_1)
	s_add_u32 s2, s2, s10
	s_addc_u32 s3, s3, s11
	s_add_u32 s2, s2, -4
	s_addc_u32 s3, s3, -1
	s_load_b64 s[10:11], s[2:3], 0x0
	s_load_b64 s[2:3], s[0:1], 0x18
	s_waitcnt lgkmcnt(0)
	s_barrier
	buffer_gl0_inv
	v_add_nc_u32_e32 v1, s10, v1
	s_sub_i32 s9, s11, s8
	s_mov_b32 s10, exec_lo
	s_delay_alu instid0(VALU_DEP_1)
	v_cmpx_gt_i32_e64 s9, v1
	s_cbranch_execz .LBB1_7
; %bb.3:
	s_load_b64 s[0:1], s[0:1], 0x28
	v_ashrrev_i32_e32 v2, 31, v1
	v_mov_b32_e32 v4, 0
	s_delay_alu instid0(VALU_DEP_2) | instskip(SKIP_1) | instid1(VALU_DEP_1)
	v_lshlrev_b64 v[2:3], 2, v[1:2]
	s_waitcnt lgkmcnt(0)
	v_add_co_u32 v2, vcc_lo, s0, v2
	s_delay_alu instid0(VALU_DEP_2)
	v_add_co_ci_u32_e32 v3, vcc_lo, s1, v3, vcc_lo
	s_add_i32 s1, s5, -1
	s_mov_b32 s5, 0
	s_branch .LBB1_5
	.p2align	6
.LBB1_4:                                ;   in Loop: Header=BB1_5 Depth=1
	s_or_b32 exec_lo, exec_lo, s0
	v_add_nc_u32_e32 v1, 0x400, v1
	v_add_co_u32 v2, s0, 0x1000, v2
	s_delay_alu instid0(VALU_DEP_1) | instskip(NEXT) | instid1(VALU_DEP_3)
	v_add_co_ci_u32_e64 v3, s0, 0, v3, s0
	v_cmp_le_i32_e32 vcc_lo, s9, v1
	s_or_b32 s5, vcc_lo, s5
	s_delay_alu instid0(SALU_CYCLE_1)
	s_and_not1_b32 exec_lo, exec_lo, s5
	s_cbranch_execz .LBB1_7
.LBB1_5:                                ; =>This Inner Loop Header: Depth=1
	global_load_b32 v5, v[2:3], off
	s_mov_b32 s0, exec_lo
	s_waitcnt vmcnt(0)
	v_subrev_nc_u32_e32 v5, s8, v5
	s_delay_alu instid0(VALU_DEP_1)
	v_cmpx_eq_u32_e64 s1, v5
	s_cbranch_execz .LBB1_4
; %bb.6:                                ;   in Loop: Header=BB1_5 Depth=1
	ds_store_b32 v4, v1
	s_branch .LBB1_4
.LBB1_7:
	s_or_b32 exec_lo, exec_lo, s10
	v_mov_b32_e32 v1, 0
	s_waitcnt lgkmcnt(0)
	s_barrier
	buffer_gl0_inv
	v_lshl_or_b32 v0, s15, 10, v0
	ds_load_b32 v1, v1
	v_cmp_gt_i32_e32 vcc_lo, s6, v0
	s_waitcnt lgkmcnt(0)
	v_readfirstlane_b32 s0, v1
	s_delay_alu instid0(VALU_DEP_1) | instskip(SKIP_1) | instid1(SALU_CYCLE_1)
	s_cmp_gt_i32 s0, -1
	s_cselect_b32 s0, -1, 0
	s_and_b32 s0, s0, vcc_lo
	s_delay_alu instid0(SALU_CYCLE_1)
	s_and_saveexec_b32 s1, s0
	s_cbranch_execz .LBB1_10
; %bb.8:
	s_abs_i32 s0, s6
	s_abs_i32 s8, s4
	v_cvt_f32_u32_e32 v2, s0
	s_sub_i32 s5, 0, s0
	s_ashr_i32 s4, s4, 31
	s_delay_alu instid0(VALU_DEP_1) | instskip(SKIP_2) | instid1(VALU_DEP_1)
	v_rcp_iflag_f32_e32 v2, v2
	s_waitcnt_depctr 0xfff
	v_mul_f32_e32 v2, 0x4f7ffffe, v2
	v_cvt_u32_f32_e32 v2, v2
	s_delay_alu instid0(VALU_DEP_1) | instskip(NEXT) | instid1(VALU_DEP_1)
	v_readfirstlane_b32 s1, v2
	s_mul_i32 s5, s5, s1
	s_delay_alu instid0(SALU_CYCLE_1) | instskip(NEXT) | instid1(SALU_CYCLE_1)
	s_mul_hi_u32 s5, s1, s5
	s_add_i32 s1, s1, s5
	s_delay_alu instid0(SALU_CYCLE_1) | instskip(NEXT) | instid1(SALU_CYCLE_1)
	s_mul_hi_u32 s1, s8, s1
	s_mul_i32 s1, s1, s0
	s_delay_alu instid0(SALU_CYCLE_1) | instskip(NEXT) | instid1(SALU_CYCLE_1)
	s_sub_i32 s1, s8, s1
	s_sub_i32 s5, s1, s0
	s_cmp_ge_u32 s1, s0
	s_cselect_b32 s1, s5, s1
	s_delay_alu instid0(SALU_CYCLE_1) | instskip(SKIP_2) | instid1(SALU_CYCLE_1)
	s_sub_i32 s5, s1, s0
	s_cmp_ge_u32 s1, s0
	s_cselect_b32 s0, s5, s1
	s_xor_b32 s0, s0, s4
	s_delay_alu instid0(SALU_CYCLE_1) | instskip(NEXT) | instid1(SALU_CYCLE_1)
	s_sub_i32 s0, s0, s4
	v_cmp_le_i32_e32 vcc_lo, s0, v0
	s_cmp_gt_i32 s0, 0
	s_cselect_b32 s0, -1, 0
	s_delay_alu instid0(SALU_CYCLE_1) | instskip(NEXT) | instid1(SALU_CYCLE_1)
	s_and_b32 s0, s0, vcc_lo
	s_and_b32 exec_lo, exec_lo, s0
	s_cbranch_execz .LBB1_10
; %bb.9:
	v_mad_u64_u32 v[2:3], null, v1, s6, v[0:1]
	s_delay_alu instid0(VALU_DEP_1) | instskip(SKIP_1) | instid1(VALU_DEP_2)
	v_mad_u64_u32 v[3:4], null, v2, s6, v[0:1]
	v_mov_b32_e32 v2, s7
	v_ashrrev_i32_e32 v4, 31, v3
	s_delay_alu instid0(VALU_DEP_1) | instskip(NEXT) | instid1(VALU_DEP_1)
	v_lshlrev_b64 v[0:1], 2, v[3:4]
	v_add_co_u32 v0, vcc_lo, s2, v0
	s_delay_alu instid0(VALU_DEP_2)
	v_add_co_ci_u32_e32 v1, vcc_lo, s3, v1, vcc_lo
	global_store_b32 v[0:1], v2, off
.LBB1_10:
	s_nop 0
	s_sendmsg sendmsg(MSG_DEALLOC_VGPRS)
	s_endpgm
	.section	.rodata,"a",@progbits
	.p2align	6, 0x0
	.amdhsa_kernel _ZN9rocsparseL28bsrpad_value_kernel_unsortedILi1024EfEEviiiT0_21rocsparse_index_base_PS1_PKiS5_
		.amdhsa_group_segment_fixed_size 4
		.amdhsa_private_segment_fixed_size 0
		.amdhsa_kernarg_size 48
		.amdhsa_user_sgpr_count 15
		.amdhsa_user_sgpr_dispatch_ptr 0
		.amdhsa_user_sgpr_queue_ptr 0
		.amdhsa_user_sgpr_kernarg_segment_ptr 1
		.amdhsa_user_sgpr_dispatch_id 0
		.amdhsa_user_sgpr_private_segment_size 0
		.amdhsa_wavefront_size32 1
		.amdhsa_uses_dynamic_stack 0
		.amdhsa_enable_private_segment 0
		.amdhsa_system_sgpr_workgroup_id_x 1
		.amdhsa_system_sgpr_workgroup_id_y 0
		.amdhsa_system_sgpr_workgroup_id_z 0
		.amdhsa_system_sgpr_workgroup_info 0
		.amdhsa_system_vgpr_workitem_id 0
		.amdhsa_next_free_vgpr 6
		.amdhsa_next_free_sgpr 16
		.amdhsa_reserve_vcc 1
		.amdhsa_float_round_mode_32 0
		.amdhsa_float_round_mode_16_64 0
		.amdhsa_float_denorm_mode_32 3
		.amdhsa_float_denorm_mode_16_64 3
		.amdhsa_dx10_clamp 1
		.amdhsa_ieee_mode 1
		.amdhsa_fp16_overflow 0
		.amdhsa_workgroup_processor_mode 1
		.amdhsa_memory_ordered 1
		.amdhsa_forward_progress 0
		.amdhsa_shared_vgpr_count 0
		.amdhsa_exception_fp_ieee_invalid_op 0
		.amdhsa_exception_fp_denorm_src 0
		.amdhsa_exception_fp_ieee_div_zero 0
		.amdhsa_exception_fp_ieee_overflow 0
		.amdhsa_exception_fp_ieee_underflow 0
		.amdhsa_exception_fp_ieee_inexact 0
		.amdhsa_exception_int_div_zero 0
	.end_amdhsa_kernel
	.section	.text._ZN9rocsparseL28bsrpad_value_kernel_unsortedILi1024EfEEviiiT0_21rocsparse_index_base_PS1_PKiS5_,"axG",@progbits,_ZN9rocsparseL28bsrpad_value_kernel_unsortedILi1024EfEEviiiT0_21rocsparse_index_base_PS1_PKiS5_,comdat
.Lfunc_end1:
	.size	_ZN9rocsparseL28bsrpad_value_kernel_unsortedILi1024EfEEviiiT0_21rocsparse_index_base_PS1_PKiS5_, .Lfunc_end1-_ZN9rocsparseL28bsrpad_value_kernel_unsortedILi1024EfEEviiiT0_21rocsparse_index_base_PS1_PKiS5_
                                        ; -- End function
	.section	.AMDGPU.csdata,"",@progbits
; Kernel info:
; codeLenInByte = 636
; NumSgprs: 18
; NumVgprs: 6
; ScratchSize: 0
; MemoryBound: 0
; FloatMode: 240
; IeeeMode: 1
; LDSByteSize: 4 bytes/workgroup (compile time only)
; SGPRBlocks: 2
; VGPRBlocks: 0
; NumSGPRsForWavesPerEU: 18
; NumVGPRsForWavesPerEU: 6
; Occupancy: 16
; WaveLimiterHint : 0
; COMPUTE_PGM_RSRC2:SCRATCH_EN: 0
; COMPUTE_PGM_RSRC2:USER_SGPR: 15
; COMPUTE_PGM_RSRC2:TRAP_HANDLER: 0
; COMPUTE_PGM_RSRC2:TGID_X_EN: 1
; COMPUTE_PGM_RSRC2:TGID_Y_EN: 0
; COMPUTE_PGM_RSRC2:TGID_Z_EN: 0
; COMPUTE_PGM_RSRC2:TIDIG_COMP_CNT: 0
	.section	.text._ZN9rocsparseL26bsrpad_value_kernel_sortedILi1024EdEEviiiT0_21rocsparse_index_base_PS1_PKiS5_,"axG",@progbits,_ZN9rocsparseL26bsrpad_value_kernel_sortedILi1024EdEEviiiT0_21rocsparse_index_base_PS1_PKiS5_,comdat
	.globl	_ZN9rocsparseL26bsrpad_value_kernel_sortedILi1024EdEEviiiT0_21rocsparse_index_base_PS1_PKiS5_ ; -- Begin function _ZN9rocsparseL26bsrpad_value_kernel_sortedILi1024EdEEviiiT0_21rocsparse_index_base_PS1_PKiS5_
	.p2align	8
	.type	_ZN9rocsparseL26bsrpad_value_kernel_sortedILi1024EdEEviiiT0_21rocsparse_index_base_PS1_PKiS5_,@function
_ZN9rocsparseL26bsrpad_value_kernel_sortedILi1024EdEEviiiT0_21rocsparse_index_base_PS1_PKiS5_: ; @_ZN9rocsparseL26bsrpad_value_kernel_sortedILi1024EdEEviiiT0_21rocsparse_index_base_PS1_PKiS5_
; %bb.0:
	s_clause 0x1
	s_load_b128 s[4:7], s[0:1], 0x0
	s_load_b64 s[2:3], s[0:1], 0x28
	s_waitcnt lgkmcnt(0)
	s_ashr_i32 s9, s5, 31
	s_mov_b32 s8, s5
	s_delay_alu instid0(SALU_CYCLE_1) | instskip(NEXT) | instid1(SALU_CYCLE_1)
	s_lshl_b64 s[8:9], s[8:9], 2
	s_add_u32 s2, s2, s8
	s_addc_u32 s3, s3, s9
	s_add_u32 s2, s2, -4
	s_addc_u32 s3, s3, -1
	s_load_b64 s[2:3], s[2:3], 0x0
	s_waitcnt lgkmcnt(0)
	s_sub_i32 s2, s3, s2
	s_delay_alu instid0(SALU_CYCLE_1)
	s_cmp_lt_i32 s2, 1
	s_mov_b32 s2, -1
	s_cbranch_scc1 .LBB2_2
; %bb.1:
	s_clause 0x1
	s_load_b32 s7, s[0:1], 0x18
	s_load_b64 s[8:9], s[0:1], 0x30
	s_add_i32 s5, s5, -1
	s_waitcnt lgkmcnt(0)
	s_sub_i32 s2, s3, s7
	s_delay_alu instid0(SALU_CYCLE_1) | instskip(SKIP_2) | instid1(SALU_CYCLE_1)
	s_ashr_i32 s3, s2, 31
	s_add_i32 s12, s2, -1
	s_lshl_b64 s[10:11], s[2:3], 2
	s_add_u32 s2, s8, s10
	s_addc_u32 s3, s9, s11
	s_add_u32 s2, s2, -4
	s_addc_u32 s3, s3, -1
	s_load_b32 s2, s[2:3], 0x0
	s_waitcnt lgkmcnt(0)
	s_sub_i32 s2, s2, s7
	s_delay_alu instid0(SALU_CYCLE_1)
	s_cmp_eq_u32 s2, s5
	s_cselect_b32 s2, s12, -1
.LBB2_2:
	v_lshl_or_b32 v0, s15, 10, v0
	s_cmp_gt_i32 s2, -1
	s_cselect_b32 s3, -1, 0
	s_delay_alu instid0(VALU_DEP_1) | instskip(SKIP_1) | instid1(SALU_CYCLE_1)
	v_cmp_gt_i32_e32 vcc_lo, s6, v0
	s_and_b32 s3, s3, vcc_lo
	s_and_saveexec_b32 s5, s3
	s_cbranch_execz .LBB2_5
; %bb.3:
	s_abs_i32 s3, s6
	s_abs_i32 s8, s4
	v_cvt_f32_u32_e32 v1, s3
	s_sub_i32 s7, 0, s3
	s_ashr_i32 s4, s4, 31
	s_delay_alu instid0(VALU_DEP_1) | instskip(SKIP_2) | instid1(VALU_DEP_1)
	v_rcp_iflag_f32_e32 v1, v1
	s_waitcnt_depctr 0xfff
	v_mul_f32_e32 v1, 0x4f7ffffe, v1
	v_cvt_u32_f32_e32 v1, v1
	s_delay_alu instid0(VALU_DEP_1) | instskip(NEXT) | instid1(VALU_DEP_1)
	v_readfirstlane_b32 s5, v1
	s_mul_i32 s7, s7, s5
	s_delay_alu instid0(SALU_CYCLE_1) | instskip(NEXT) | instid1(SALU_CYCLE_1)
	s_mul_hi_u32 s7, s5, s7
	s_add_i32 s5, s5, s7
	s_delay_alu instid0(SALU_CYCLE_1) | instskip(NEXT) | instid1(SALU_CYCLE_1)
	s_mul_hi_u32 s5, s8, s5
	s_mul_i32 s5, s5, s3
	s_delay_alu instid0(SALU_CYCLE_1) | instskip(NEXT) | instid1(SALU_CYCLE_1)
	s_sub_i32 s5, s8, s5
	s_sub_i32 s7, s5, s3
	s_cmp_ge_u32 s5, s3
	s_cselect_b32 s5, s7, s5
	s_delay_alu instid0(SALU_CYCLE_1) | instskip(SKIP_2) | instid1(SALU_CYCLE_1)
	s_sub_i32 s7, s5, s3
	s_cmp_ge_u32 s5, s3
	s_cselect_b32 s3, s7, s5
	s_xor_b32 s3, s3, s4
	s_delay_alu instid0(SALU_CYCLE_1) | instskip(NEXT) | instid1(SALU_CYCLE_1)
	s_sub_i32 s3, s3, s4
	v_cmp_le_i32_e32 vcc_lo, s3, v0
	s_cmp_gt_i32 s3, 0
	s_cselect_b32 s3, -1, 0
	s_delay_alu instid0(SALU_CYCLE_1) | instskip(NEXT) | instid1(SALU_CYCLE_1)
	s_and_b32 s3, s3, vcc_lo
	s_and_b32 exec_lo, exec_lo, s3
	s_cbranch_execz .LBB2_5
; %bb.4:
	v_mad_u64_u32 v[1:2], null, s2, s6, v[0:1]
	s_clause 0x1
	s_load_b64 s[2:3], s[0:1], 0x20
	s_load_b64 s[0:1], s[0:1], 0x10
	s_delay_alu instid0(VALU_DEP_1) | instskip(NEXT) | instid1(VALU_DEP_1)
	v_mad_u64_u32 v[2:3], null, v1, s6, v[0:1]
	v_ashrrev_i32_e32 v3, 31, v2
	s_delay_alu instid0(VALU_DEP_1) | instskip(SKIP_2) | instid1(VALU_DEP_2)
	v_lshlrev_b64 v[0:1], 3, v[2:3]
	s_waitcnt lgkmcnt(0)
	v_dual_mov_b32 v3, s1 :: v_dual_mov_b32 v2, s0
	v_add_co_u32 v0, vcc_lo, s2, v0
	s_delay_alu instid0(VALU_DEP_3)
	v_add_co_ci_u32_e32 v1, vcc_lo, s3, v1, vcc_lo
	global_store_b64 v[0:1], v[2:3], off
.LBB2_5:
	s_nop 0
	s_sendmsg sendmsg(MSG_DEALLOC_VGPRS)
	s_endpgm
	.section	.rodata,"a",@progbits
	.p2align	6, 0x0
	.amdhsa_kernel _ZN9rocsparseL26bsrpad_value_kernel_sortedILi1024EdEEviiiT0_21rocsparse_index_base_PS1_PKiS5_
		.amdhsa_group_segment_fixed_size 0
		.amdhsa_private_segment_fixed_size 0
		.amdhsa_kernarg_size 56
		.amdhsa_user_sgpr_count 15
		.amdhsa_user_sgpr_dispatch_ptr 0
		.amdhsa_user_sgpr_queue_ptr 0
		.amdhsa_user_sgpr_kernarg_segment_ptr 1
		.amdhsa_user_sgpr_dispatch_id 0
		.amdhsa_user_sgpr_private_segment_size 0
		.amdhsa_wavefront_size32 1
		.amdhsa_uses_dynamic_stack 0
		.amdhsa_enable_private_segment 0
		.amdhsa_system_sgpr_workgroup_id_x 1
		.amdhsa_system_sgpr_workgroup_id_y 0
		.amdhsa_system_sgpr_workgroup_id_z 0
		.amdhsa_system_sgpr_workgroup_info 0
		.amdhsa_system_vgpr_workitem_id 0
		.amdhsa_next_free_vgpr 4
		.amdhsa_next_free_sgpr 16
		.amdhsa_reserve_vcc 1
		.amdhsa_float_round_mode_32 0
		.amdhsa_float_round_mode_16_64 0
		.amdhsa_float_denorm_mode_32 3
		.amdhsa_float_denorm_mode_16_64 3
		.amdhsa_dx10_clamp 1
		.amdhsa_ieee_mode 1
		.amdhsa_fp16_overflow 0
		.amdhsa_workgroup_processor_mode 1
		.amdhsa_memory_ordered 1
		.amdhsa_forward_progress 0
		.amdhsa_shared_vgpr_count 0
		.amdhsa_exception_fp_ieee_invalid_op 0
		.amdhsa_exception_fp_denorm_src 0
		.amdhsa_exception_fp_ieee_div_zero 0
		.amdhsa_exception_fp_ieee_overflow 0
		.amdhsa_exception_fp_ieee_underflow 0
		.amdhsa_exception_fp_ieee_inexact 0
		.amdhsa_exception_int_div_zero 0
	.end_amdhsa_kernel
	.section	.text._ZN9rocsparseL26bsrpad_value_kernel_sortedILi1024EdEEviiiT0_21rocsparse_index_base_PS1_PKiS5_,"axG",@progbits,_ZN9rocsparseL26bsrpad_value_kernel_sortedILi1024EdEEviiiT0_21rocsparse_index_base_PS1_PKiS5_,comdat
.Lfunc_end2:
	.size	_ZN9rocsparseL26bsrpad_value_kernel_sortedILi1024EdEEviiiT0_21rocsparse_index_base_PS1_PKiS5_, .Lfunc_end2-_ZN9rocsparseL26bsrpad_value_kernel_sortedILi1024EdEEviiiT0_21rocsparse_index_base_PS1_PKiS5_
                                        ; -- End function
	.section	.AMDGPU.csdata,"",@progbits
; Kernel info:
; codeLenInByte = 476
; NumSgprs: 18
; NumVgprs: 4
; ScratchSize: 0
; MemoryBound: 0
; FloatMode: 240
; IeeeMode: 1
; LDSByteSize: 0 bytes/workgroup (compile time only)
; SGPRBlocks: 2
; VGPRBlocks: 0
; NumSGPRsForWavesPerEU: 18
; NumVGPRsForWavesPerEU: 4
; Occupancy: 16
; WaveLimiterHint : 1
; COMPUTE_PGM_RSRC2:SCRATCH_EN: 0
; COMPUTE_PGM_RSRC2:USER_SGPR: 15
; COMPUTE_PGM_RSRC2:TRAP_HANDLER: 0
; COMPUTE_PGM_RSRC2:TGID_X_EN: 1
; COMPUTE_PGM_RSRC2:TGID_Y_EN: 0
; COMPUTE_PGM_RSRC2:TGID_Z_EN: 0
; COMPUTE_PGM_RSRC2:TIDIG_COMP_CNT: 0
	.section	.text._ZN9rocsparseL28bsrpad_value_kernel_unsortedILi1024EdEEviiiT0_21rocsparse_index_base_PS1_PKiS5_,"axG",@progbits,_ZN9rocsparseL28bsrpad_value_kernel_unsortedILi1024EdEEviiiT0_21rocsparse_index_base_PS1_PKiS5_,comdat
	.globl	_ZN9rocsparseL28bsrpad_value_kernel_unsortedILi1024EdEEviiiT0_21rocsparse_index_base_PS1_PKiS5_ ; -- Begin function _ZN9rocsparseL28bsrpad_value_kernel_unsortedILi1024EdEEviiiT0_21rocsparse_index_base_PS1_PKiS5_
	.p2align	8
	.type	_ZN9rocsparseL28bsrpad_value_kernel_unsortedILi1024EdEEviiiT0_21rocsparse_index_base_PS1_PKiS5_,@function
_ZN9rocsparseL28bsrpad_value_kernel_unsortedILi1024EdEEviiiT0_21rocsparse_index_base_PS1_PKiS5_: ; @_ZN9rocsparseL28bsrpad_value_kernel_unsortedILi1024EdEEviiiT0_21rocsparse_index_base_PS1_PKiS5_
; %bb.0:
	s_load_b64 s[2:3], s[0:1], 0x28
	s_mov_b32 s4, exec_lo
	v_cmpx_eq_u32_e32 0, v0
	s_cbranch_execz .LBB3_2
; %bb.1:
	v_dual_mov_b32 v1, -1 :: v_dual_mov_b32 v2, 0
	ds_store_b32 v2, v1
.LBB3_2:
	s_or_b32 exec_lo, exec_lo, s4
	s_load_b128 s[4:7], s[0:1], 0x0
	s_waitcnt lgkmcnt(0)
	s_load_b32 s7, s[0:1], 0x18
	s_mov_b32 s10, exec_lo
	s_ashr_i32 s9, s5, 31
	s_mov_b32 s8, s5
	s_waitcnt lgkmcnt(0)
	v_subrev_nc_u32_e32 v1, s7, v0
	s_lshl_b64 s[8:9], s[8:9], 2
	s_delay_alu instid0(SALU_CYCLE_1)
	s_add_u32 s2, s2, s8
	s_addc_u32 s3, s3, s9
	s_add_u32 s2, s2, -4
	s_addc_u32 s3, s3, -1
	s_load_b64 s[2:3], s[2:3], 0x0
	s_load_b64 s[8:9], s[0:1], 0x20
	s_waitcnt lgkmcnt(0)
	s_barrier
	buffer_gl0_inv
	v_add_nc_u32_e32 v1, s2, v1
	s_sub_i32 s3, s3, s7
	s_delay_alu instid0(VALU_DEP_1) | instid1(SALU_CYCLE_1)
	v_cmpx_gt_i32_e64 s3, v1
	s_cbranch_execz .LBB3_7
; %bb.3:
	s_load_b64 s[12:13], s[0:1], 0x30
	v_ashrrev_i32_e32 v2, 31, v1
	v_mov_b32_e32 v4, 0
	s_add_i32 s5, s5, -1
	s_mov_b32 s11, 0
	s_delay_alu instid0(VALU_DEP_2) | instskip(SKIP_1) | instid1(VALU_DEP_1)
	v_lshlrev_b64 v[2:3], 2, v[1:2]
	s_waitcnt lgkmcnt(0)
	v_add_co_u32 v2, vcc_lo, s12, v2
	s_delay_alu instid0(VALU_DEP_2)
	v_add_co_ci_u32_e32 v3, vcc_lo, s13, v3, vcc_lo
	s_branch .LBB3_5
	.p2align	6
.LBB3_4:                                ;   in Loop: Header=BB3_5 Depth=1
	s_or_b32 exec_lo, exec_lo, s2
	v_add_nc_u32_e32 v1, 0x400, v1
	v_add_co_u32 v2, s2, 0x1000, v2
	s_delay_alu instid0(VALU_DEP_1) | instskip(NEXT) | instid1(VALU_DEP_3)
	v_add_co_ci_u32_e64 v3, s2, 0, v3, s2
	v_cmp_le_i32_e32 vcc_lo, s3, v1
	s_or_b32 s11, vcc_lo, s11
	s_delay_alu instid0(SALU_CYCLE_1)
	s_and_not1_b32 exec_lo, exec_lo, s11
	s_cbranch_execz .LBB3_7
.LBB3_5:                                ; =>This Inner Loop Header: Depth=1
	global_load_b32 v5, v[2:3], off
	s_mov_b32 s2, exec_lo
	s_waitcnt vmcnt(0)
	v_subrev_nc_u32_e32 v5, s7, v5
	s_delay_alu instid0(VALU_DEP_1)
	v_cmpx_eq_u32_e64 s5, v5
	s_cbranch_execz .LBB3_4
; %bb.6:                                ;   in Loop: Header=BB3_5 Depth=1
	ds_store_b32 v4, v1
	s_branch .LBB3_4
.LBB3_7:
	s_or_b32 exec_lo, exec_lo, s10
	v_mov_b32_e32 v1, 0
	s_waitcnt lgkmcnt(0)
	s_barrier
	buffer_gl0_inv
	v_lshl_or_b32 v0, s15, 10, v0
	ds_load_b32 v1, v1
	v_cmp_gt_i32_e32 vcc_lo, s6, v0
	s_waitcnt lgkmcnt(0)
	v_readfirstlane_b32 s2, v1
	s_delay_alu instid0(VALU_DEP_1) | instskip(SKIP_1) | instid1(SALU_CYCLE_1)
	s_cmp_gt_i32 s2, -1
	s_cselect_b32 s2, -1, 0
	s_and_b32 s2, s2, vcc_lo
	s_delay_alu instid0(SALU_CYCLE_1)
	s_and_saveexec_b32 s3, s2
	s_cbranch_execz .LBB3_10
; %bb.8:
	s_abs_i32 s2, s6
	s_abs_i32 s7, s4
	v_cvt_f32_u32_e32 v2, s2
	s_sub_i32 s5, 0, s2
	s_ashr_i32 s4, s4, 31
	s_delay_alu instid0(VALU_DEP_1) | instskip(SKIP_2) | instid1(VALU_DEP_1)
	v_rcp_iflag_f32_e32 v2, v2
	s_waitcnt_depctr 0xfff
	v_mul_f32_e32 v2, 0x4f7ffffe, v2
	v_cvt_u32_f32_e32 v2, v2
	s_delay_alu instid0(VALU_DEP_1) | instskip(NEXT) | instid1(VALU_DEP_1)
	v_readfirstlane_b32 s3, v2
	s_mul_i32 s5, s5, s3
	s_delay_alu instid0(SALU_CYCLE_1) | instskip(NEXT) | instid1(SALU_CYCLE_1)
	s_mul_hi_u32 s5, s3, s5
	s_add_i32 s3, s3, s5
	s_delay_alu instid0(SALU_CYCLE_1) | instskip(NEXT) | instid1(SALU_CYCLE_1)
	s_mul_hi_u32 s3, s7, s3
	s_mul_i32 s3, s3, s2
	s_delay_alu instid0(SALU_CYCLE_1) | instskip(NEXT) | instid1(SALU_CYCLE_1)
	s_sub_i32 s3, s7, s3
	s_sub_i32 s5, s3, s2
	s_cmp_ge_u32 s3, s2
	s_cselect_b32 s3, s5, s3
	s_delay_alu instid0(SALU_CYCLE_1) | instskip(SKIP_2) | instid1(SALU_CYCLE_1)
	s_sub_i32 s5, s3, s2
	s_cmp_ge_u32 s3, s2
	s_cselect_b32 s2, s5, s3
	s_xor_b32 s2, s2, s4
	s_delay_alu instid0(SALU_CYCLE_1) | instskip(NEXT) | instid1(SALU_CYCLE_1)
	s_sub_i32 s2, s2, s4
	v_cmp_le_i32_e32 vcc_lo, s2, v0
	s_cmp_gt_i32 s2, 0
	s_cselect_b32 s2, -1, 0
	s_delay_alu instid0(SALU_CYCLE_1) | instskip(NEXT) | instid1(SALU_CYCLE_1)
	s_and_b32 s2, s2, vcc_lo
	s_and_b32 exec_lo, exec_lo, s2
	s_cbranch_execz .LBB3_10
; %bb.9:
	v_mad_u64_u32 v[2:3], null, v1, s6, v[0:1]
	s_load_b64 s[0:1], s[0:1], 0x10
	s_delay_alu instid0(VALU_DEP_1) | instskip(NEXT) | instid1(VALU_DEP_1)
	v_mad_u64_u32 v[3:4], null, v2, s6, v[0:1]
	v_ashrrev_i32_e32 v4, 31, v3
	s_delay_alu instid0(VALU_DEP_1) | instskip(SKIP_2) | instid1(VALU_DEP_2)
	v_lshlrev_b64 v[0:1], 3, v[3:4]
	s_waitcnt lgkmcnt(0)
	v_dual_mov_b32 v3, s1 :: v_dual_mov_b32 v2, s0
	v_add_co_u32 v0, vcc_lo, s8, v0
	s_delay_alu instid0(VALU_DEP_3)
	v_add_co_ci_u32_e32 v1, vcc_lo, s9, v1, vcc_lo
	global_store_b64 v[0:1], v[2:3], off
.LBB3_10:
	s_nop 0
	s_sendmsg sendmsg(MSG_DEALLOC_VGPRS)
	s_endpgm
	.section	.rodata,"a",@progbits
	.p2align	6, 0x0
	.amdhsa_kernel _ZN9rocsparseL28bsrpad_value_kernel_unsortedILi1024EdEEviiiT0_21rocsparse_index_base_PS1_PKiS5_
		.amdhsa_group_segment_fixed_size 4
		.amdhsa_private_segment_fixed_size 0
		.amdhsa_kernarg_size 56
		.amdhsa_user_sgpr_count 15
		.amdhsa_user_sgpr_dispatch_ptr 0
		.amdhsa_user_sgpr_queue_ptr 0
		.amdhsa_user_sgpr_kernarg_segment_ptr 1
		.amdhsa_user_sgpr_dispatch_id 0
		.amdhsa_user_sgpr_private_segment_size 0
		.amdhsa_wavefront_size32 1
		.amdhsa_uses_dynamic_stack 0
		.amdhsa_enable_private_segment 0
		.amdhsa_system_sgpr_workgroup_id_x 1
		.amdhsa_system_sgpr_workgroup_id_y 0
		.amdhsa_system_sgpr_workgroup_id_z 0
		.amdhsa_system_sgpr_workgroup_info 0
		.amdhsa_system_vgpr_workitem_id 0
		.amdhsa_next_free_vgpr 6
		.amdhsa_next_free_sgpr 16
		.amdhsa_reserve_vcc 1
		.amdhsa_float_round_mode_32 0
		.amdhsa_float_round_mode_16_64 0
		.amdhsa_float_denorm_mode_32 3
		.amdhsa_float_denorm_mode_16_64 3
		.amdhsa_dx10_clamp 1
		.amdhsa_ieee_mode 1
		.amdhsa_fp16_overflow 0
		.amdhsa_workgroup_processor_mode 1
		.amdhsa_memory_ordered 1
		.amdhsa_forward_progress 0
		.amdhsa_shared_vgpr_count 0
		.amdhsa_exception_fp_ieee_invalid_op 0
		.amdhsa_exception_fp_denorm_src 0
		.amdhsa_exception_fp_ieee_div_zero 0
		.amdhsa_exception_fp_ieee_overflow 0
		.amdhsa_exception_fp_ieee_underflow 0
		.amdhsa_exception_fp_ieee_inexact 0
		.amdhsa_exception_int_div_zero 0
	.end_amdhsa_kernel
	.section	.text._ZN9rocsparseL28bsrpad_value_kernel_unsortedILi1024EdEEviiiT0_21rocsparse_index_base_PS1_PKiS5_,"axG",@progbits,_ZN9rocsparseL28bsrpad_value_kernel_unsortedILi1024EdEEviiiT0_21rocsparse_index_base_PS1_PKiS5_,comdat
.Lfunc_end3:
	.size	_ZN9rocsparseL28bsrpad_value_kernel_unsortedILi1024EdEEviiiT0_21rocsparse_index_base_PS1_PKiS5_, .Lfunc_end3-_ZN9rocsparseL28bsrpad_value_kernel_unsortedILi1024EdEEviiiT0_21rocsparse_index_base_PS1_PKiS5_
                                        ; -- End function
	.section	.AMDGPU.csdata,"",@progbits
; Kernel info:
; codeLenInByte = 652
; NumSgprs: 18
; NumVgprs: 6
; ScratchSize: 0
; MemoryBound: 0
; FloatMode: 240
; IeeeMode: 1
; LDSByteSize: 4 bytes/workgroup (compile time only)
; SGPRBlocks: 2
; VGPRBlocks: 0
; NumSGPRsForWavesPerEU: 18
; NumVGPRsForWavesPerEU: 6
; Occupancy: 16
; WaveLimiterHint : 0
; COMPUTE_PGM_RSRC2:SCRATCH_EN: 0
; COMPUTE_PGM_RSRC2:USER_SGPR: 15
; COMPUTE_PGM_RSRC2:TRAP_HANDLER: 0
; COMPUTE_PGM_RSRC2:TGID_X_EN: 1
; COMPUTE_PGM_RSRC2:TGID_Y_EN: 0
; COMPUTE_PGM_RSRC2:TGID_Z_EN: 0
; COMPUTE_PGM_RSRC2:TIDIG_COMP_CNT: 0
	.section	.text._ZN9rocsparseL26bsrpad_value_kernel_sortedILi1024E21rocsparse_complex_numIfEEEviiiT0_21rocsparse_index_base_PS3_PKiS7_,"axG",@progbits,_ZN9rocsparseL26bsrpad_value_kernel_sortedILi1024E21rocsparse_complex_numIfEEEviiiT0_21rocsparse_index_base_PS3_PKiS7_,comdat
	.globl	_ZN9rocsparseL26bsrpad_value_kernel_sortedILi1024E21rocsparse_complex_numIfEEEviiiT0_21rocsparse_index_base_PS3_PKiS7_ ; -- Begin function _ZN9rocsparseL26bsrpad_value_kernel_sortedILi1024E21rocsparse_complex_numIfEEEviiiT0_21rocsparse_index_base_PS3_PKiS7_
	.p2align	8
	.type	_ZN9rocsparseL26bsrpad_value_kernel_sortedILi1024E21rocsparse_complex_numIfEEEviiiT0_21rocsparse_index_base_PS3_PKiS7_,@function
_ZN9rocsparseL26bsrpad_value_kernel_sortedILi1024E21rocsparse_complex_numIfEEEviiiT0_21rocsparse_index_base_PS3_PKiS7_: ; @_ZN9rocsparseL26bsrpad_value_kernel_sortedILi1024E21rocsparse_complex_numIfEEEviiiT0_21rocsparse_index_base_PS3_PKiS7_
; %bb.0:
	s_clause 0x1
	s_load_b128 s[4:7], s[0:1], 0x0
	s_load_b64 s[2:3], s[0:1], 0x20
	s_waitcnt lgkmcnt(0)
	s_ashr_i32 s9, s5, 31
	s_mov_b32 s8, s5
	s_delay_alu instid0(SALU_CYCLE_1) | instskip(NEXT) | instid1(SALU_CYCLE_1)
	s_lshl_b64 s[8:9], s[8:9], 2
	s_add_u32 s2, s2, s8
	s_addc_u32 s3, s3, s9
	s_add_u32 s2, s2, -4
	s_addc_u32 s3, s3, -1
	s_load_b64 s[2:3], s[2:3], 0x0
	s_waitcnt lgkmcnt(0)
	s_sub_i32 s2, s3, s2
	s_delay_alu instid0(SALU_CYCLE_1)
	s_cmp_lt_i32 s2, 1
	s_mov_b32 s2, -1
	s_cbranch_scc1 .LBB4_2
; %bb.1:
	s_clause 0x1
	s_load_b32 s7, s[0:1], 0x14
	s_load_b64 s[8:9], s[0:1], 0x28
	s_add_i32 s5, s5, -1
	s_waitcnt lgkmcnt(0)
	s_sub_i32 s2, s3, s7
	s_delay_alu instid0(SALU_CYCLE_1) | instskip(SKIP_2) | instid1(SALU_CYCLE_1)
	s_ashr_i32 s3, s2, 31
	s_add_i32 s12, s2, -1
	s_lshl_b64 s[10:11], s[2:3], 2
	s_add_u32 s2, s8, s10
	s_addc_u32 s3, s9, s11
	s_add_u32 s2, s2, -4
	s_addc_u32 s3, s3, -1
	s_load_b32 s2, s[2:3], 0x0
	s_waitcnt lgkmcnt(0)
	s_sub_i32 s2, s2, s7
	s_delay_alu instid0(SALU_CYCLE_1)
	s_cmp_eq_u32 s2, s5
	s_cselect_b32 s2, s12, -1
.LBB4_2:
	v_lshl_or_b32 v0, s15, 10, v0
	s_cmp_gt_i32 s2, -1
	s_cselect_b32 s3, -1, 0
	s_delay_alu instid0(VALU_DEP_1) | instskip(SKIP_1) | instid1(SALU_CYCLE_1)
	v_cmp_gt_i32_e32 vcc_lo, s6, v0
	s_and_b32 s3, s3, vcc_lo
	s_and_saveexec_b32 s5, s3
	s_cbranch_execz .LBB4_5
; %bb.3:
	s_abs_i32 s3, s6
	s_abs_i32 s8, s4
	v_cvt_f32_u32_e32 v1, s3
	s_sub_i32 s7, 0, s3
	s_ashr_i32 s4, s4, 31
	s_delay_alu instid0(VALU_DEP_1) | instskip(SKIP_2) | instid1(VALU_DEP_1)
	v_rcp_iflag_f32_e32 v1, v1
	s_waitcnt_depctr 0xfff
	v_mul_f32_e32 v1, 0x4f7ffffe, v1
	v_cvt_u32_f32_e32 v1, v1
	s_delay_alu instid0(VALU_DEP_1) | instskip(NEXT) | instid1(VALU_DEP_1)
	v_readfirstlane_b32 s5, v1
	s_mul_i32 s7, s7, s5
	s_delay_alu instid0(SALU_CYCLE_1) | instskip(NEXT) | instid1(SALU_CYCLE_1)
	s_mul_hi_u32 s7, s5, s7
	s_add_i32 s5, s5, s7
	s_delay_alu instid0(SALU_CYCLE_1) | instskip(NEXT) | instid1(SALU_CYCLE_1)
	s_mul_hi_u32 s5, s8, s5
	s_mul_i32 s5, s5, s3
	s_delay_alu instid0(SALU_CYCLE_1) | instskip(NEXT) | instid1(SALU_CYCLE_1)
	s_sub_i32 s5, s8, s5
	s_sub_i32 s7, s5, s3
	s_cmp_ge_u32 s5, s3
	s_cselect_b32 s5, s7, s5
	s_delay_alu instid0(SALU_CYCLE_1) | instskip(SKIP_2) | instid1(SALU_CYCLE_1)
	s_sub_i32 s7, s5, s3
	s_cmp_ge_u32 s5, s3
	s_cselect_b32 s3, s7, s5
	s_xor_b32 s3, s3, s4
	s_delay_alu instid0(SALU_CYCLE_1) | instskip(NEXT) | instid1(SALU_CYCLE_1)
	s_sub_i32 s3, s3, s4
	v_cmp_le_i32_e32 vcc_lo, s3, v0
	s_cmp_gt_i32 s3, 0
	s_cselect_b32 s3, -1, 0
	s_delay_alu instid0(SALU_CYCLE_1) | instskip(NEXT) | instid1(SALU_CYCLE_1)
	s_and_b32 s3, s3, vcc_lo
	s_and_b32 exec_lo, exec_lo, s3
	s_cbranch_execz .LBB4_5
; %bb.4:
	v_mad_u64_u32 v[1:2], null, s2, s6, v[0:1]
	s_clause 0x1
	s_load_b64 s[2:3], s[0:1], 0x18
	s_load_b64 s[0:1], s[0:1], 0xc
	s_delay_alu instid0(VALU_DEP_1) | instskip(NEXT) | instid1(VALU_DEP_1)
	v_mad_u64_u32 v[2:3], null, v1, s6, v[0:1]
	v_ashrrev_i32_e32 v3, 31, v2
	s_delay_alu instid0(VALU_DEP_1) | instskip(SKIP_2) | instid1(VALU_DEP_2)
	v_lshlrev_b64 v[0:1], 3, v[2:3]
	s_waitcnt lgkmcnt(0)
	v_dual_mov_b32 v3, s1 :: v_dual_mov_b32 v2, s0
	v_add_co_u32 v0, vcc_lo, s2, v0
	s_delay_alu instid0(VALU_DEP_3)
	v_add_co_ci_u32_e32 v1, vcc_lo, s3, v1, vcc_lo
	global_store_b64 v[0:1], v[2:3], off
.LBB4_5:
	s_nop 0
	s_sendmsg sendmsg(MSG_DEALLOC_VGPRS)
	s_endpgm
	.section	.rodata,"a",@progbits
	.p2align	6, 0x0
	.amdhsa_kernel _ZN9rocsparseL26bsrpad_value_kernel_sortedILi1024E21rocsparse_complex_numIfEEEviiiT0_21rocsparse_index_base_PS3_PKiS7_
		.amdhsa_group_segment_fixed_size 0
		.amdhsa_private_segment_fixed_size 0
		.amdhsa_kernarg_size 48
		.amdhsa_user_sgpr_count 15
		.amdhsa_user_sgpr_dispatch_ptr 0
		.amdhsa_user_sgpr_queue_ptr 0
		.amdhsa_user_sgpr_kernarg_segment_ptr 1
		.amdhsa_user_sgpr_dispatch_id 0
		.amdhsa_user_sgpr_private_segment_size 0
		.amdhsa_wavefront_size32 1
		.amdhsa_uses_dynamic_stack 0
		.amdhsa_enable_private_segment 0
		.amdhsa_system_sgpr_workgroup_id_x 1
		.amdhsa_system_sgpr_workgroup_id_y 0
		.amdhsa_system_sgpr_workgroup_id_z 0
		.amdhsa_system_sgpr_workgroup_info 0
		.amdhsa_system_vgpr_workitem_id 0
		.amdhsa_next_free_vgpr 4
		.amdhsa_next_free_sgpr 16
		.amdhsa_reserve_vcc 1
		.amdhsa_float_round_mode_32 0
		.amdhsa_float_round_mode_16_64 0
		.amdhsa_float_denorm_mode_32 3
		.amdhsa_float_denorm_mode_16_64 3
		.amdhsa_dx10_clamp 1
		.amdhsa_ieee_mode 1
		.amdhsa_fp16_overflow 0
		.amdhsa_workgroup_processor_mode 1
		.amdhsa_memory_ordered 1
		.amdhsa_forward_progress 0
		.amdhsa_shared_vgpr_count 0
		.amdhsa_exception_fp_ieee_invalid_op 0
		.amdhsa_exception_fp_denorm_src 0
		.amdhsa_exception_fp_ieee_div_zero 0
		.amdhsa_exception_fp_ieee_overflow 0
		.amdhsa_exception_fp_ieee_underflow 0
		.amdhsa_exception_fp_ieee_inexact 0
		.amdhsa_exception_int_div_zero 0
	.end_amdhsa_kernel
	.section	.text._ZN9rocsparseL26bsrpad_value_kernel_sortedILi1024E21rocsparse_complex_numIfEEEviiiT0_21rocsparse_index_base_PS3_PKiS7_,"axG",@progbits,_ZN9rocsparseL26bsrpad_value_kernel_sortedILi1024E21rocsparse_complex_numIfEEEviiiT0_21rocsparse_index_base_PS3_PKiS7_,comdat
.Lfunc_end4:
	.size	_ZN9rocsparseL26bsrpad_value_kernel_sortedILi1024E21rocsparse_complex_numIfEEEviiiT0_21rocsparse_index_base_PS3_PKiS7_, .Lfunc_end4-_ZN9rocsparseL26bsrpad_value_kernel_sortedILi1024E21rocsparse_complex_numIfEEEviiiT0_21rocsparse_index_base_PS3_PKiS7_
                                        ; -- End function
	.section	.AMDGPU.csdata,"",@progbits
; Kernel info:
; codeLenInByte = 476
; NumSgprs: 18
; NumVgprs: 4
; ScratchSize: 0
; MemoryBound: 0
; FloatMode: 240
; IeeeMode: 1
; LDSByteSize: 0 bytes/workgroup (compile time only)
; SGPRBlocks: 2
; VGPRBlocks: 0
; NumSGPRsForWavesPerEU: 18
; NumVGPRsForWavesPerEU: 4
; Occupancy: 16
; WaveLimiterHint : 1
; COMPUTE_PGM_RSRC2:SCRATCH_EN: 0
; COMPUTE_PGM_RSRC2:USER_SGPR: 15
; COMPUTE_PGM_RSRC2:TRAP_HANDLER: 0
; COMPUTE_PGM_RSRC2:TGID_X_EN: 1
; COMPUTE_PGM_RSRC2:TGID_Y_EN: 0
; COMPUTE_PGM_RSRC2:TGID_Z_EN: 0
; COMPUTE_PGM_RSRC2:TIDIG_COMP_CNT: 0
	.section	.text._ZN9rocsparseL28bsrpad_value_kernel_unsortedILi1024E21rocsparse_complex_numIfEEEviiiT0_21rocsparse_index_base_PS3_PKiS7_,"axG",@progbits,_ZN9rocsparseL28bsrpad_value_kernel_unsortedILi1024E21rocsparse_complex_numIfEEEviiiT0_21rocsparse_index_base_PS3_PKiS7_,comdat
	.globl	_ZN9rocsparseL28bsrpad_value_kernel_unsortedILi1024E21rocsparse_complex_numIfEEEviiiT0_21rocsparse_index_base_PS3_PKiS7_ ; -- Begin function _ZN9rocsparseL28bsrpad_value_kernel_unsortedILi1024E21rocsparse_complex_numIfEEEviiiT0_21rocsparse_index_base_PS3_PKiS7_
	.p2align	8
	.type	_ZN9rocsparseL28bsrpad_value_kernel_unsortedILi1024E21rocsparse_complex_numIfEEEviiiT0_21rocsparse_index_base_PS3_PKiS7_,@function
_ZN9rocsparseL28bsrpad_value_kernel_unsortedILi1024E21rocsparse_complex_numIfEEEviiiT0_21rocsparse_index_base_PS3_PKiS7_: ; @_ZN9rocsparseL28bsrpad_value_kernel_unsortedILi1024E21rocsparse_complex_numIfEEEviiiT0_21rocsparse_index_base_PS3_PKiS7_
; %bb.0:
	s_load_b64 s[2:3], s[0:1], 0x20
	s_mov_b32 s4, exec_lo
	v_cmpx_eq_u32_e32 0, v0
	s_cbranch_execz .LBB5_2
; %bb.1:
	v_dual_mov_b32 v1, -1 :: v_dual_mov_b32 v2, 0
	ds_store_b32 v2, v1
.LBB5_2:
	s_or_b32 exec_lo, exec_lo, s4
	s_load_b128 s[4:7], s[0:1], 0x0
	s_waitcnt lgkmcnt(0)
	s_load_b32 s7, s[0:1], 0x14
	s_mov_b32 s10, exec_lo
	s_ashr_i32 s9, s5, 31
	s_mov_b32 s8, s5
	s_waitcnt lgkmcnt(0)
	v_subrev_nc_u32_e32 v1, s7, v0
	s_lshl_b64 s[8:9], s[8:9], 2
	s_delay_alu instid0(SALU_CYCLE_1)
	s_add_u32 s2, s2, s8
	s_addc_u32 s3, s3, s9
	s_add_u32 s2, s2, -4
	s_addc_u32 s3, s3, -1
	s_load_b64 s[2:3], s[2:3], 0x0
	s_load_b64 s[8:9], s[0:1], 0x18
	s_waitcnt lgkmcnt(0)
	s_barrier
	buffer_gl0_inv
	v_add_nc_u32_e32 v1, s2, v1
	s_sub_i32 s3, s3, s7
	s_delay_alu instid0(VALU_DEP_1) | instid1(SALU_CYCLE_1)
	v_cmpx_gt_i32_e64 s3, v1
	s_cbranch_execz .LBB5_7
; %bb.3:
	s_load_b64 s[12:13], s[0:1], 0x28
	v_ashrrev_i32_e32 v2, 31, v1
	v_mov_b32_e32 v4, 0
	s_add_i32 s5, s5, -1
	s_mov_b32 s11, 0
	s_delay_alu instid0(VALU_DEP_2) | instskip(SKIP_1) | instid1(VALU_DEP_1)
	v_lshlrev_b64 v[2:3], 2, v[1:2]
	s_waitcnt lgkmcnt(0)
	v_add_co_u32 v2, vcc_lo, s12, v2
	s_delay_alu instid0(VALU_DEP_2)
	v_add_co_ci_u32_e32 v3, vcc_lo, s13, v3, vcc_lo
	s_branch .LBB5_5
	.p2align	6
.LBB5_4:                                ;   in Loop: Header=BB5_5 Depth=1
	s_or_b32 exec_lo, exec_lo, s2
	v_add_nc_u32_e32 v1, 0x400, v1
	v_add_co_u32 v2, s2, 0x1000, v2
	s_delay_alu instid0(VALU_DEP_1) | instskip(NEXT) | instid1(VALU_DEP_3)
	v_add_co_ci_u32_e64 v3, s2, 0, v3, s2
	v_cmp_le_i32_e32 vcc_lo, s3, v1
	s_or_b32 s11, vcc_lo, s11
	s_delay_alu instid0(SALU_CYCLE_1)
	s_and_not1_b32 exec_lo, exec_lo, s11
	s_cbranch_execz .LBB5_7
.LBB5_5:                                ; =>This Inner Loop Header: Depth=1
	global_load_b32 v5, v[2:3], off
	s_mov_b32 s2, exec_lo
	s_waitcnt vmcnt(0)
	v_subrev_nc_u32_e32 v5, s7, v5
	s_delay_alu instid0(VALU_DEP_1)
	v_cmpx_eq_u32_e64 s5, v5
	s_cbranch_execz .LBB5_4
; %bb.6:                                ;   in Loop: Header=BB5_5 Depth=1
	ds_store_b32 v4, v1
	s_branch .LBB5_4
.LBB5_7:
	s_or_b32 exec_lo, exec_lo, s10
	v_mov_b32_e32 v1, 0
	s_waitcnt lgkmcnt(0)
	s_barrier
	buffer_gl0_inv
	v_lshl_or_b32 v0, s15, 10, v0
	ds_load_b32 v1, v1
	v_cmp_gt_i32_e32 vcc_lo, s6, v0
	s_waitcnt lgkmcnt(0)
	v_readfirstlane_b32 s2, v1
	s_delay_alu instid0(VALU_DEP_1) | instskip(SKIP_1) | instid1(SALU_CYCLE_1)
	s_cmp_gt_i32 s2, -1
	s_cselect_b32 s2, -1, 0
	s_and_b32 s2, s2, vcc_lo
	s_delay_alu instid0(SALU_CYCLE_1)
	s_and_saveexec_b32 s3, s2
	s_cbranch_execz .LBB5_10
; %bb.8:
	s_abs_i32 s2, s6
	s_abs_i32 s7, s4
	v_cvt_f32_u32_e32 v2, s2
	s_sub_i32 s5, 0, s2
	s_ashr_i32 s4, s4, 31
	s_delay_alu instid0(VALU_DEP_1) | instskip(SKIP_2) | instid1(VALU_DEP_1)
	v_rcp_iflag_f32_e32 v2, v2
	s_waitcnt_depctr 0xfff
	v_mul_f32_e32 v2, 0x4f7ffffe, v2
	v_cvt_u32_f32_e32 v2, v2
	s_delay_alu instid0(VALU_DEP_1) | instskip(NEXT) | instid1(VALU_DEP_1)
	v_readfirstlane_b32 s3, v2
	s_mul_i32 s5, s5, s3
	s_delay_alu instid0(SALU_CYCLE_1) | instskip(NEXT) | instid1(SALU_CYCLE_1)
	s_mul_hi_u32 s5, s3, s5
	s_add_i32 s3, s3, s5
	s_delay_alu instid0(SALU_CYCLE_1) | instskip(NEXT) | instid1(SALU_CYCLE_1)
	s_mul_hi_u32 s3, s7, s3
	s_mul_i32 s3, s3, s2
	s_delay_alu instid0(SALU_CYCLE_1) | instskip(NEXT) | instid1(SALU_CYCLE_1)
	s_sub_i32 s3, s7, s3
	s_sub_i32 s5, s3, s2
	s_cmp_ge_u32 s3, s2
	s_cselect_b32 s3, s5, s3
	s_delay_alu instid0(SALU_CYCLE_1) | instskip(SKIP_2) | instid1(SALU_CYCLE_1)
	s_sub_i32 s5, s3, s2
	s_cmp_ge_u32 s3, s2
	s_cselect_b32 s2, s5, s3
	s_xor_b32 s2, s2, s4
	s_delay_alu instid0(SALU_CYCLE_1) | instskip(NEXT) | instid1(SALU_CYCLE_1)
	s_sub_i32 s2, s2, s4
	v_cmp_le_i32_e32 vcc_lo, s2, v0
	s_cmp_gt_i32 s2, 0
	s_cselect_b32 s2, -1, 0
	s_delay_alu instid0(SALU_CYCLE_1) | instskip(NEXT) | instid1(SALU_CYCLE_1)
	s_and_b32 s2, s2, vcc_lo
	s_and_b32 exec_lo, exec_lo, s2
	s_cbranch_execz .LBB5_10
; %bb.9:
	v_mad_u64_u32 v[2:3], null, v1, s6, v[0:1]
	s_load_b64 s[0:1], s[0:1], 0xc
	s_delay_alu instid0(VALU_DEP_1) | instskip(NEXT) | instid1(VALU_DEP_1)
	v_mad_u64_u32 v[3:4], null, v2, s6, v[0:1]
	v_ashrrev_i32_e32 v4, 31, v3
	s_delay_alu instid0(VALU_DEP_1) | instskip(SKIP_2) | instid1(VALU_DEP_2)
	v_lshlrev_b64 v[0:1], 3, v[3:4]
	s_waitcnt lgkmcnt(0)
	v_dual_mov_b32 v3, s1 :: v_dual_mov_b32 v2, s0
	v_add_co_u32 v0, vcc_lo, s8, v0
	s_delay_alu instid0(VALU_DEP_3)
	v_add_co_ci_u32_e32 v1, vcc_lo, s9, v1, vcc_lo
	global_store_b64 v[0:1], v[2:3], off
.LBB5_10:
	s_nop 0
	s_sendmsg sendmsg(MSG_DEALLOC_VGPRS)
	s_endpgm
	.section	.rodata,"a",@progbits
	.p2align	6, 0x0
	.amdhsa_kernel _ZN9rocsparseL28bsrpad_value_kernel_unsortedILi1024E21rocsparse_complex_numIfEEEviiiT0_21rocsparse_index_base_PS3_PKiS7_
		.amdhsa_group_segment_fixed_size 4
		.amdhsa_private_segment_fixed_size 0
		.amdhsa_kernarg_size 48
		.amdhsa_user_sgpr_count 15
		.amdhsa_user_sgpr_dispatch_ptr 0
		.amdhsa_user_sgpr_queue_ptr 0
		.amdhsa_user_sgpr_kernarg_segment_ptr 1
		.amdhsa_user_sgpr_dispatch_id 0
		.amdhsa_user_sgpr_private_segment_size 0
		.amdhsa_wavefront_size32 1
		.amdhsa_uses_dynamic_stack 0
		.amdhsa_enable_private_segment 0
		.amdhsa_system_sgpr_workgroup_id_x 1
		.amdhsa_system_sgpr_workgroup_id_y 0
		.amdhsa_system_sgpr_workgroup_id_z 0
		.amdhsa_system_sgpr_workgroup_info 0
		.amdhsa_system_vgpr_workitem_id 0
		.amdhsa_next_free_vgpr 6
		.amdhsa_next_free_sgpr 16
		.amdhsa_reserve_vcc 1
		.amdhsa_float_round_mode_32 0
		.amdhsa_float_round_mode_16_64 0
		.amdhsa_float_denorm_mode_32 3
		.amdhsa_float_denorm_mode_16_64 3
		.amdhsa_dx10_clamp 1
		.amdhsa_ieee_mode 1
		.amdhsa_fp16_overflow 0
		.amdhsa_workgroup_processor_mode 1
		.amdhsa_memory_ordered 1
		.amdhsa_forward_progress 0
		.amdhsa_shared_vgpr_count 0
		.amdhsa_exception_fp_ieee_invalid_op 0
		.amdhsa_exception_fp_denorm_src 0
		.amdhsa_exception_fp_ieee_div_zero 0
		.amdhsa_exception_fp_ieee_overflow 0
		.amdhsa_exception_fp_ieee_underflow 0
		.amdhsa_exception_fp_ieee_inexact 0
		.amdhsa_exception_int_div_zero 0
	.end_amdhsa_kernel
	.section	.text._ZN9rocsparseL28bsrpad_value_kernel_unsortedILi1024E21rocsparse_complex_numIfEEEviiiT0_21rocsparse_index_base_PS3_PKiS7_,"axG",@progbits,_ZN9rocsparseL28bsrpad_value_kernel_unsortedILi1024E21rocsparse_complex_numIfEEEviiiT0_21rocsparse_index_base_PS3_PKiS7_,comdat
.Lfunc_end5:
	.size	_ZN9rocsparseL28bsrpad_value_kernel_unsortedILi1024E21rocsparse_complex_numIfEEEviiiT0_21rocsparse_index_base_PS3_PKiS7_, .Lfunc_end5-_ZN9rocsparseL28bsrpad_value_kernel_unsortedILi1024E21rocsparse_complex_numIfEEEviiiT0_21rocsparse_index_base_PS3_PKiS7_
                                        ; -- End function
	.section	.AMDGPU.csdata,"",@progbits
; Kernel info:
; codeLenInByte = 652
; NumSgprs: 18
; NumVgprs: 6
; ScratchSize: 0
; MemoryBound: 0
; FloatMode: 240
; IeeeMode: 1
; LDSByteSize: 4 bytes/workgroup (compile time only)
; SGPRBlocks: 2
; VGPRBlocks: 0
; NumSGPRsForWavesPerEU: 18
; NumVGPRsForWavesPerEU: 6
; Occupancy: 16
; WaveLimiterHint : 0
; COMPUTE_PGM_RSRC2:SCRATCH_EN: 0
; COMPUTE_PGM_RSRC2:USER_SGPR: 15
; COMPUTE_PGM_RSRC2:TRAP_HANDLER: 0
; COMPUTE_PGM_RSRC2:TGID_X_EN: 1
; COMPUTE_PGM_RSRC2:TGID_Y_EN: 0
; COMPUTE_PGM_RSRC2:TGID_Z_EN: 0
; COMPUTE_PGM_RSRC2:TIDIG_COMP_CNT: 0
	.section	.text._ZN9rocsparseL26bsrpad_value_kernel_sortedILi1024E21rocsparse_complex_numIdEEEviiiT0_21rocsparse_index_base_PS3_PKiS7_,"axG",@progbits,_ZN9rocsparseL26bsrpad_value_kernel_sortedILi1024E21rocsparse_complex_numIdEEEviiiT0_21rocsparse_index_base_PS3_PKiS7_,comdat
	.globl	_ZN9rocsparseL26bsrpad_value_kernel_sortedILi1024E21rocsparse_complex_numIdEEEviiiT0_21rocsparse_index_base_PS3_PKiS7_ ; -- Begin function _ZN9rocsparseL26bsrpad_value_kernel_sortedILi1024E21rocsparse_complex_numIdEEEviiiT0_21rocsparse_index_base_PS3_PKiS7_
	.p2align	8
	.type	_ZN9rocsparseL26bsrpad_value_kernel_sortedILi1024E21rocsparse_complex_numIdEEEviiiT0_21rocsparse_index_base_PS3_PKiS7_,@function
_ZN9rocsparseL26bsrpad_value_kernel_sortedILi1024E21rocsparse_complex_numIdEEEviiiT0_21rocsparse_index_base_PS3_PKiS7_: ; @_ZN9rocsparseL26bsrpad_value_kernel_sortedILi1024E21rocsparse_complex_numIdEEEviiiT0_21rocsparse_index_base_PS3_PKiS7_
; %bb.0:
	s_clause 0x1
	s_load_b128 s[4:7], s[0:1], 0x0
	s_load_b64 s[2:3], s[0:1], 0x30
	s_waitcnt lgkmcnt(0)
	s_ashr_i32 s9, s5, 31
	s_mov_b32 s8, s5
	s_delay_alu instid0(SALU_CYCLE_1) | instskip(NEXT) | instid1(SALU_CYCLE_1)
	s_lshl_b64 s[8:9], s[8:9], 2
	s_add_u32 s2, s2, s8
	s_addc_u32 s3, s3, s9
	s_add_u32 s2, s2, -4
	s_addc_u32 s3, s3, -1
	s_load_b64 s[2:3], s[2:3], 0x0
	s_waitcnt lgkmcnt(0)
	s_sub_i32 s2, s3, s2
	s_delay_alu instid0(SALU_CYCLE_1)
	s_cmp_lt_i32 s2, 1
	s_mov_b32 s2, -1
	s_cbranch_scc1 .LBB6_2
; %bb.1:
	s_clause 0x1
	s_load_b32 s7, s[0:1], 0x20
	s_load_b64 s[8:9], s[0:1], 0x38
	s_add_i32 s5, s5, -1
	s_waitcnt lgkmcnt(0)
	s_sub_i32 s2, s3, s7
	s_delay_alu instid0(SALU_CYCLE_1) | instskip(SKIP_2) | instid1(SALU_CYCLE_1)
	s_ashr_i32 s3, s2, 31
	s_add_i32 s12, s2, -1
	s_lshl_b64 s[10:11], s[2:3], 2
	s_add_u32 s2, s8, s10
	s_addc_u32 s3, s9, s11
	s_add_u32 s2, s2, -4
	s_addc_u32 s3, s3, -1
	s_load_b32 s2, s[2:3], 0x0
	s_waitcnt lgkmcnt(0)
	s_sub_i32 s2, s2, s7
	s_delay_alu instid0(SALU_CYCLE_1)
	s_cmp_eq_u32 s2, s5
	s_cselect_b32 s2, s12, -1
.LBB6_2:
	v_lshl_or_b32 v0, s15, 10, v0
	s_cmp_gt_i32 s2, -1
	s_cselect_b32 s3, -1, 0
	s_delay_alu instid0(VALU_DEP_1) | instskip(SKIP_1) | instid1(SALU_CYCLE_1)
	v_cmp_gt_i32_e32 vcc_lo, s6, v0
	s_and_b32 s3, s3, vcc_lo
	s_and_saveexec_b32 s5, s3
	s_cbranch_execz .LBB6_5
; %bb.3:
	s_abs_i32 s3, s6
	s_abs_i32 s8, s4
	v_cvt_f32_u32_e32 v1, s3
	s_sub_i32 s7, 0, s3
	s_ashr_i32 s4, s4, 31
	s_delay_alu instid0(VALU_DEP_1) | instskip(SKIP_2) | instid1(VALU_DEP_1)
	v_rcp_iflag_f32_e32 v1, v1
	s_waitcnt_depctr 0xfff
	v_mul_f32_e32 v1, 0x4f7ffffe, v1
	v_cvt_u32_f32_e32 v1, v1
	s_delay_alu instid0(VALU_DEP_1) | instskip(NEXT) | instid1(VALU_DEP_1)
	v_readfirstlane_b32 s5, v1
	s_mul_i32 s7, s7, s5
	s_delay_alu instid0(SALU_CYCLE_1) | instskip(NEXT) | instid1(SALU_CYCLE_1)
	s_mul_hi_u32 s7, s5, s7
	s_add_i32 s5, s5, s7
	s_delay_alu instid0(SALU_CYCLE_1) | instskip(NEXT) | instid1(SALU_CYCLE_1)
	s_mul_hi_u32 s5, s8, s5
	s_mul_i32 s5, s5, s3
	s_delay_alu instid0(SALU_CYCLE_1) | instskip(NEXT) | instid1(SALU_CYCLE_1)
	s_sub_i32 s5, s8, s5
	s_sub_i32 s7, s5, s3
	s_cmp_ge_u32 s5, s3
	s_cselect_b32 s5, s7, s5
	s_delay_alu instid0(SALU_CYCLE_1) | instskip(SKIP_2) | instid1(SALU_CYCLE_1)
	s_sub_i32 s7, s5, s3
	s_cmp_ge_u32 s5, s3
	s_cselect_b32 s3, s7, s5
	s_xor_b32 s3, s3, s4
	s_delay_alu instid0(SALU_CYCLE_1) | instskip(NEXT) | instid1(SALU_CYCLE_1)
	s_sub_i32 s3, s3, s4
	v_cmp_le_i32_e32 vcc_lo, s3, v0
	s_cmp_gt_i32 s3, 0
	s_cselect_b32 s3, -1, 0
	s_delay_alu instid0(SALU_CYCLE_1) | instskip(NEXT) | instid1(SALU_CYCLE_1)
	s_and_b32 s3, s3, vcc_lo
	s_and_b32 exec_lo, exec_lo, s3
	s_cbranch_execz .LBB6_5
; %bb.4:
	v_mad_u64_u32 v[1:2], null, s2, s6, v[0:1]
	s_clause 0x1
	s_load_b64 s[4:5], s[0:1], 0x28
	s_load_b128 s[0:3], s[0:1], 0x10
	s_delay_alu instid0(VALU_DEP_1) | instskip(NEXT) | instid1(VALU_DEP_1)
	v_mad_u64_u32 v[2:3], null, v1, s6, v[0:1]
	v_ashrrev_i32_e32 v3, 31, v2
	s_delay_alu instid0(VALU_DEP_1) | instskip(SKIP_1) | instid1(VALU_DEP_1)
	v_lshlrev_b64 v[0:1], 4, v[2:3]
	s_waitcnt lgkmcnt(0)
	v_add_co_u32 v4, vcc_lo, s4, v0
	s_delay_alu instid0(VALU_DEP_2)
	v_add_co_ci_u32_e32 v5, vcc_lo, s5, v1, vcc_lo
	v_dual_mov_b32 v0, s0 :: v_dual_mov_b32 v1, s1
	v_dual_mov_b32 v2, s2 :: v_dual_mov_b32 v3, s3
	global_store_b128 v[4:5], v[0:3], off
.LBB6_5:
	s_nop 0
	s_sendmsg sendmsg(MSG_DEALLOC_VGPRS)
	s_endpgm
	.section	.rodata,"a",@progbits
	.p2align	6, 0x0
	.amdhsa_kernel _ZN9rocsparseL26bsrpad_value_kernel_sortedILi1024E21rocsparse_complex_numIdEEEviiiT0_21rocsparse_index_base_PS3_PKiS7_
		.amdhsa_group_segment_fixed_size 0
		.amdhsa_private_segment_fixed_size 0
		.amdhsa_kernarg_size 64
		.amdhsa_user_sgpr_count 15
		.amdhsa_user_sgpr_dispatch_ptr 0
		.amdhsa_user_sgpr_queue_ptr 0
		.amdhsa_user_sgpr_kernarg_segment_ptr 1
		.amdhsa_user_sgpr_dispatch_id 0
		.amdhsa_user_sgpr_private_segment_size 0
		.amdhsa_wavefront_size32 1
		.amdhsa_uses_dynamic_stack 0
		.amdhsa_enable_private_segment 0
		.amdhsa_system_sgpr_workgroup_id_x 1
		.amdhsa_system_sgpr_workgroup_id_y 0
		.amdhsa_system_sgpr_workgroup_id_z 0
		.amdhsa_system_sgpr_workgroup_info 0
		.amdhsa_system_vgpr_workitem_id 0
		.amdhsa_next_free_vgpr 6
		.amdhsa_next_free_sgpr 16
		.amdhsa_reserve_vcc 1
		.amdhsa_float_round_mode_32 0
		.amdhsa_float_round_mode_16_64 0
		.amdhsa_float_denorm_mode_32 3
		.amdhsa_float_denorm_mode_16_64 3
		.amdhsa_dx10_clamp 1
		.amdhsa_ieee_mode 1
		.amdhsa_fp16_overflow 0
		.amdhsa_workgroup_processor_mode 1
		.amdhsa_memory_ordered 1
		.amdhsa_forward_progress 0
		.amdhsa_shared_vgpr_count 0
		.amdhsa_exception_fp_ieee_invalid_op 0
		.amdhsa_exception_fp_denorm_src 0
		.amdhsa_exception_fp_ieee_div_zero 0
		.amdhsa_exception_fp_ieee_overflow 0
		.amdhsa_exception_fp_ieee_underflow 0
		.amdhsa_exception_fp_ieee_inexact 0
		.amdhsa_exception_int_div_zero 0
	.end_amdhsa_kernel
	.section	.text._ZN9rocsparseL26bsrpad_value_kernel_sortedILi1024E21rocsparse_complex_numIdEEEviiiT0_21rocsparse_index_base_PS3_PKiS7_,"axG",@progbits,_ZN9rocsparseL26bsrpad_value_kernel_sortedILi1024E21rocsparse_complex_numIdEEEviiiT0_21rocsparse_index_base_PS3_PKiS7_,comdat
.Lfunc_end6:
	.size	_ZN9rocsparseL26bsrpad_value_kernel_sortedILi1024E21rocsparse_complex_numIdEEEviiiT0_21rocsparse_index_base_PS3_PKiS7_, .Lfunc_end6-_ZN9rocsparseL26bsrpad_value_kernel_sortedILi1024E21rocsparse_complex_numIdEEEviiiT0_21rocsparse_index_base_PS3_PKiS7_
                                        ; -- End function
	.section	.AMDGPU.csdata,"",@progbits
; Kernel info:
; codeLenInByte = 484
; NumSgprs: 18
; NumVgprs: 6
; ScratchSize: 0
; MemoryBound: 0
; FloatMode: 240
; IeeeMode: 1
; LDSByteSize: 0 bytes/workgroup (compile time only)
; SGPRBlocks: 2
; VGPRBlocks: 0
; NumSGPRsForWavesPerEU: 18
; NumVGPRsForWavesPerEU: 6
; Occupancy: 16
; WaveLimiterHint : 1
; COMPUTE_PGM_RSRC2:SCRATCH_EN: 0
; COMPUTE_PGM_RSRC2:USER_SGPR: 15
; COMPUTE_PGM_RSRC2:TRAP_HANDLER: 0
; COMPUTE_PGM_RSRC2:TGID_X_EN: 1
; COMPUTE_PGM_RSRC2:TGID_Y_EN: 0
; COMPUTE_PGM_RSRC2:TGID_Z_EN: 0
; COMPUTE_PGM_RSRC2:TIDIG_COMP_CNT: 0
	.section	.text._ZN9rocsparseL28bsrpad_value_kernel_unsortedILi1024E21rocsparse_complex_numIdEEEviiiT0_21rocsparse_index_base_PS3_PKiS7_,"axG",@progbits,_ZN9rocsparseL28bsrpad_value_kernel_unsortedILi1024E21rocsparse_complex_numIdEEEviiiT0_21rocsparse_index_base_PS3_PKiS7_,comdat
	.globl	_ZN9rocsparseL28bsrpad_value_kernel_unsortedILi1024E21rocsparse_complex_numIdEEEviiiT0_21rocsparse_index_base_PS3_PKiS7_ ; -- Begin function _ZN9rocsparseL28bsrpad_value_kernel_unsortedILi1024E21rocsparse_complex_numIdEEEviiiT0_21rocsparse_index_base_PS3_PKiS7_
	.p2align	8
	.type	_ZN9rocsparseL28bsrpad_value_kernel_unsortedILi1024E21rocsparse_complex_numIdEEEviiiT0_21rocsparse_index_base_PS3_PKiS7_,@function
_ZN9rocsparseL28bsrpad_value_kernel_unsortedILi1024E21rocsparse_complex_numIdEEEviiiT0_21rocsparse_index_base_PS3_PKiS7_: ; @_ZN9rocsparseL28bsrpad_value_kernel_unsortedILi1024E21rocsparse_complex_numIdEEEviiiT0_21rocsparse_index_base_PS3_PKiS7_
; %bb.0:
	s_load_b64 s[2:3], s[0:1], 0x30
	s_mov_b32 s4, exec_lo
	v_cmpx_eq_u32_e32 0, v0
	s_cbranch_execz .LBB7_2
; %bb.1:
	v_dual_mov_b32 v1, -1 :: v_dual_mov_b32 v2, 0
	ds_store_b32 v2, v1
.LBB7_2:
	s_or_b32 exec_lo, exec_lo, s4
	s_load_b128 s[4:7], s[0:1], 0x0
	s_waitcnt lgkmcnt(0)
	s_load_b32 s7, s[0:1], 0x20
	s_mov_b32 s10, exec_lo
	s_ashr_i32 s9, s5, 31
	s_mov_b32 s8, s5
	s_waitcnt lgkmcnt(0)
	v_subrev_nc_u32_e32 v1, s7, v0
	s_lshl_b64 s[8:9], s[8:9], 2
	s_delay_alu instid0(SALU_CYCLE_1)
	s_add_u32 s2, s2, s8
	s_addc_u32 s3, s3, s9
	s_add_u32 s2, s2, -4
	s_addc_u32 s3, s3, -1
	s_load_b64 s[2:3], s[2:3], 0x0
	s_load_b64 s[8:9], s[0:1], 0x28
	s_waitcnt lgkmcnt(0)
	s_barrier
	buffer_gl0_inv
	v_add_nc_u32_e32 v1, s2, v1
	s_sub_i32 s3, s3, s7
	s_delay_alu instid0(VALU_DEP_1) | instid1(SALU_CYCLE_1)
	v_cmpx_gt_i32_e64 s3, v1
	s_cbranch_execz .LBB7_7
; %bb.3:
	s_load_b64 s[12:13], s[0:1], 0x38
	v_ashrrev_i32_e32 v2, 31, v1
	v_mov_b32_e32 v4, 0
	s_add_i32 s5, s5, -1
	s_mov_b32 s11, 0
	s_delay_alu instid0(VALU_DEP_2) | instskip(SKIP_1) | instid1(VALU_DEP_1)
	v_lshlrev_b64 v[2:3], 2, v[1:2]
	s_waitcnt lgkmcnt(0)
	v_add_co_u32 v2, vcc_lo, s12, v2
	s_delay_alu instid0(VALU_DEP_2)
	v_add_co_ci_u32_e32 v3, vcc_lo, s13, v3, vcc_lo
	s_branch .LBB7_5
	.p2align	6
.LBB7_4:                                ;   in Loop: Header=BB7_5 Depth=1
	s_or_b32 exec_lo, exec_lo, s2
	v_add_nc_u32_e32 v1, 0x400, v1
	v_add_co_u32 v2, s2, 0x1000, v2
	s_delay_alu instid0(VALU_DEP_1) | instskip(NEXT) | instid1(VALU_DEP_3)
	v_add_co_ci_u32_e64 v3, s2, 0, v3, s2
	v_cmp_le_i32_e32 vcc_lo, s3, v1
	s_or_b32 s11, vcc_lo, s11
	s_delay_alu instid0(SALU_CYCLE_1)
	s_and_not1_b32 exec_lo, exec_lo, s11
	s_cbranch_execz .LBB7_7
.LBB7_5:                                ; =>This Inner Loop Header: Depth=1
	global_load_b32 v5, v[2:3], off
	s_mov_b32 s2, exec_lo
	s_waitcnt vmcnt(0)
	v_subrev_nc_u32_e32 v5, s7, v5
	s_delay_alu instid0(VALU_DEP_1)
	v_cmpx_eq_u32_e64 s5, v5
	s_cbranch_execz .LBB7_4
; %bb.6:                                ;   in Loop: Header=BB7_5 Depth=1
	ds_store_b32 v4, v1
	s_branch .LBB7_4
.LBB7_7:
	s_or_b32 exec_lo, exec_lo, s10
	v_mov_b32_e32 v1, 0
	s_waitcnt lgkmcnt(0)
	s_barrier
	buffer_gl0_inv
	v_lshl_or_b32 v0, s15, 10, v0
	ds_load_b32 v1, v1
	v_cmp_gt_i32_e32 vcc_lo, s6, v0
	s_waitcnt lgkmcnt(0)
	v_readfirstlane_b32 s2, v1
	s_delay_alu instid0(VALU_DEP_1) | instskip(SKIP_1) | instid1(SALU_CYCLE_1)
	s_cmp_gt_i32 s2, -1
	s_cselect_b32 s2, -1, 0
	s_and_b32 s2, s2, vcc_lo
	s_delay_alu instid0(SALU_CYCLE_1)
	s_and_saveexec_b32 s3, s2
	s_cbranch_execz .LBB7_10
; %bb.8:
	s_abs_i32 s2, s6
	s_abs_i32 s7, s4
	v_cvt_f32_u32_e32 v2, s2
	s_sub_i32 s5, 0, s2
	s_ashr_i32 s4, s4, 31
	s_delay_alu instid0(VALU_DEP_1) | instskip(SKIP_2) | instid1(VALU_DEP_1)
	v_rcp_iflag_f32_e32 v2, v2
	s_waitcnt_depctr 0xfff
	v_mul_f32_e32 v2, 0x4f7ffffe, v2
	v_cvt_u32_f32_e32 v2, v2
	s_delay_alu instid0(VALU_DEP_1) | instskip(NEXT) | instid1(VALU_DEP_1)
	v_readfirstlane_b32 s3, v2
	s_mul_i32 s5, s5, s3
	s_delay_alu instid0(SALU_CYCLE_1) | instskip(NEXT) | instid1(SALU_CYCLE_1)
	s_mul_hi_u32 s5, s3, s5
	s_add_i32 s3, s3, s5
	s_delay_alu instid0(SALU_CYCLE_1) | instskip(NEXT) | instid1(SALU_CYCLE_1)
	s_mul_hi_u32 s3, s7, s3
	s_mul_i32 s3, s3, s2
	s_delay_alu instid0(SALU_CYCLE_1) | instskip(NEXT) | instid1(SALU_CYCLE_1)
	s_sub_i32 s3, s7, s3
	s_sub_i32 s5, s3, s2
	s_cmp_ge_u32 s3, s2
	s_cselect_b32 s3, s5, s3
	s_delay_alu instid0(SALU_CYCLE_1) | instskip(SKIP_2) | instid1(SALU_CYCLE_1)
	s_sub_i32 s5, s3, s2
	s_cmp_ge_u32 s3, s2
	s_cselect_b32 s2, s5, s3
	s_xor_b32 s2, s2, s4
	s_delay_alu instid0(SALU_CYCLE_1) | instskip(NEXT) | instid1(SALU_CYCLE_1)
	s_sub_i32 s2, s2, s4
	v_cmp_le_i32_e32 vcc_lo, s2, v0
	s_cmp_gt_i32 s2, 0
	s_cselect_b32 s2, -1, 0
	s_delay_alu instid0(SALU_CYCLE_1) | instskip(NEXT) | instid1(SALU_CYCLE_1)
	s_and_b32 s2, s2, vcc_lo
	s_and_b32 exec_lo, exec_lo, s2
	s_cbranch_execz .LBB7_10
; %bb.9:
	v_mad_u64_u32 v[2:3], null, v1, s6, v[0:1]
	s_load_b128 s[0:3], s[0:1], 0x10
	s_delay_alu instid0(VALU_DEP_1) | instskip(NEXT) | instid1(VALU_DEP_1)
	v_mad_u64_u32 v[3:4], null, v2, s6, v[0:1]
	v_ashrrev_i32_e32 v4, 31, v3
	s_delay_alu instid0(VALU_DEP_1) | instskip(NEXT) | instid1(VALU_DEP_1)
	v_lshlrev_b64 v[0:1], 4, v[3:4]
	v_add_co_u32 v4, vcc_lo, s8, v0
	s_delay_alu instid0(VALU_DEP_2)
	v_add_co_ci_u32_e32 v5, vcc_lo, s9, v1, vcc_lo
	s_waitcnt lgkmcnt(0)
	v_dual_mov_b32 v0, s0 :: v_dual_mov_b32 v1, s1
	v_dual_mov_b32 v2, s2 :: v_dual_mov_b32 v3, s3
	global_store_b128 v[4:5], v[0:3], off
.LBB7_10:
	s_nop 0
	s_sendmsg sendmsg(MSG_DEALLOC_VGPRS)
	s_endpgm
	.section	.rodata,"a",@progbits
	.p2align	6, 0x0
	.amdhsa_kernel _ZN9rocsparseL28bsrpad_value_kernel_unsortedILi1024E21rocsparse_complex_numIdEEEviiiT0_21rocsparse_index_base_PS3_PKiS7_
		.amdhsa_group_segment_fixed_size 4
		.amdhsa_private_segment_fixed_size 0
		.amdhsa_kernarg_size 64
		.amdhsa_user_sgpr_count 15
		.amdhsa_user_sgpr_dispatch_ptr 0
		.amdhsa_user_sgpr_queue_ptr 0
		.amdhsa_user_sgpr_kernarg_segment_ptr 1
		.amdhsa_user_sgpr_dispatch_id 0
		.amdhsa_user_sgpr_private_segment_size 0
		.amdhsa_wavefront_size32 1
		.amdhsa_uses_dynamic_stack 0
		.amdhsa_enable_private_segment 0
		.amdhsa_system_sgpr_workgroup_id_x 1
		.amdhsa_system_sgpr_workgroup_id_y 0
		.amdhsa_system_sgpr_workgroup_id_z 0
		.amdhsa_system_sgpr_workgroup_info 0
		.amdhsa_system_vgpr_workitem_id 0
		.amdhsa_next_free_vgpr 6
		.amdhsa_next_free_sgpr 16
		.amdhsa_reserve_vcc 1
		.amdhsa_float_round_mode_32 0
		.amdhsa_float_round_mode_16_64 0
		.amdhsa_float_denorm_mode_32 3
		.amdhsa_float_denorm_mode_16_64 3
		.amdhsa_dx10_clamp 1
		.amdhsa_ieee_mode 1
		.amdhsa_fp16_overflow 0
		.amdhsa_workgroup_processor_mode 1
		.amdhsa_memory_ordered 1
		.amdhsa_forward_progress 0
		.amdhsa_shared_vgpr_count 0
		.amdhsa_exception_fp_ieee_invalid_op 0
		.amdhsa_exception_fp_denorm_src 0
		.amdhsa_exception_fp_ieee_div_zero 0
		.amdhsa_exception_fp_ieee_overflow 0
		.amdhsa_exception_fp_ieee_underflow 0
		.amdhsa_exception_fp_ieee_inexact 0
		.amdhsa_exception_int_div_zero 0
	.end_amdhsa_kernel
	.section	.text._ZN9rocsparseL28bsrpad_value_kernel_unsortedILi1024E21rocsparse_complex_numIdEEEviiiT0_21rocsparse_index_base_PS3_PKiS7_,"axG",@progbits,_ZN9rocsparseL28bsrpad_value_kernel_unsortedILi1024E21rocsparse_complex_numIdEEEviiiT0_21rocsparse_index_base_PS3_PKiS7_,comdat
.Lfunc_end7:
	.size	_ZN9rocsparseL28bsrpad_value_kernel_unsortedILi1024E21rocsparse_complex_numIdEEEviiiT0_21rocsparse_index_base_PS3_PKiS7_, .Lfunc_end7-_ZN9rocsparseL28bsrpad_value_kernel_unsortedILi1024E21rocsparse_complex_numIdEEEviiiT0_21rocsparse_index_base_PS3_PKiS7_
                                        ; -- End function
	.section	.AMDGPU.csdata,"",@progbits
; Kernel info:
; codeLenInByte = 660
; NumSgprs: 18
; NumVgprs: 6
; ScratchSize: 0
; MemoryBound: 0
; FloatMode: 240
; IeeeMode: 1
; LDSByteSize: 4 bytes/workgroup (compile time only)
; SGPRBlocks: 2
; VGPRBlocks: 0
; NumSGPRsForWavesPerEU: 18
; NumVGPRsForWavesPerEU: 6
; Occupancy: 16
; WaveLimiterHint : 0
; COMPUTE_PGM_RSRC2:SCRATCH_EN: 0
; COMPUTE_PGM_RSRC2:USER_SGPR: 15
; COMPUTE_PGM_RSRC2:TRAP_HANDLER: 0
; COMPUTE_PGM_RSRC2:TGID_X_EN: 1
; COMPUTE_PGM_RSRC2:TGID_Y_EN: 0
; COMPUTE_PGM_RSRC2:TGID_Z_EN: 0
; COMPUTE_PGM_RSRC2:TIDIG_COMP_CNT: 0
	.text
	.p2alignl 7, 3214868480
	.fill 96, 4, 3214868480
	.type	__hip_cuid_dae62ca97cbb2a67,@object ; @__hip_cuid_dae62ca97cbb2a67
	.section	.bss,"aw",@nobits
	.globl	__hip_cuid_dae62ca97cbb2a67
__hip_cuid_dae62ca97cbb2a67:
	.byte	0                               ; 0x0
	.size	__hip_cuid_dae62ca97cbb2a67, 1

	.ident	"AMD clang version 19.0.0git (https://github.com/RadeonOpenCompute/llvm-project roc-6.4.0 25133 c7fe45cf4b819c5991fe208aaa96edf142730f1d)"
	.section	".note.GNU-stack","",@progbits
	.addrsig
	.addrsig_sym __hip_cuid_dae62ca97cbb2a67
	.amdgpu_metadata
---
amdhsa.kernels:
  - .args:
      - .offset:         0
        .size:           4
        .value_kind:     by_value
      - .offset:         4
        .size:           4
        .value_kind:     by_value
      - .offset:         8
        .size:           4
        .value_kind:     by_value
      - .offset:         12
        .size:           4
        .value_kind:     by_value
      - .offset:         16
        .size:           4
        .value_kind:     by_value
      - .actual_access:  write_only
        .address_space:  global
        .offset:         24
        .size:           8
        .value_kind:     global_buffer
      - .actual_access:  read_only
        .address_space:  global
        .offset:         32
        .size:           8
        .value_kind:     global_buffer
      - .actual_access:  read_only
        .address_space:  global
        .offset:         40
        .size:           8
        .value_kind:     global_buffer
    .group_segment_fixed_size: 0
    .kernarg_segment_align: 8
    .kernarg_segment_size: 48
    .language:       OpenCL C
    .language_version:
      - 2
      - 0
    .max_flat_workgroup_size: 1024
    .name:           _ZN9rocsparseL26bsrpad_value_kernel_sortedILi1024EfEEviiiT0_21rocsparse_index_base_PS1_PKiS5_
    .private_segment_fixed_size: 0
    .sgpr_count:     18
    .sgpr_spill_count: 0
    .symbol:         _ZN9rocsparseL26bsrpad_value_kernel_sortedILi1024EfEEviiiT0_21rocsparse_index_base_PS1_PKiS5_.kd
    .uniform_work_group_size: 1
    .uses_dynamic_stack: false
    .vgpr_count:     4
    .vgpr_spill_count: 0
    .wavefront_size: 32
    .workgroup_processor_mode: 1
  - .args:
      - .offset:         0
        .size:           4
        .value_kind:     by_value
      - .offset:         4
        .size:           4
        .value_kind:     by_value
      - .offset:         8
        .size:           4
        .value_kind:     by_value
      - .offset:         12
        .size:           4
        .value_kind:     by_value
      - .offset:         16
        .size:           4
        .value_kind:     by_value
      - .actual_access:  write_only
        .address_space:  global
        .offset:         24
        .size:           8
        .value_kind:     global_buffer
      - .actual_access:  read_only
        .address_space:  global
        .offset:         32
        .size:           8
        .value_kind:     global_buffer
      - .actual_access:  read_only
        .address_space:  global
        .offset:         40
        .size:           8
        .value_kind:     global_buffer
    .group_segment_fixed_size: 4
    .kernarg_segment_align: 8
    .kernarg_segment_size: 48
    .language:       OpenCL C
    .language_version:
      - 2
      - 0
    .max_flat_workgroup_size: 1024
    .name:           _ZN9rocsparseL28bsrpad_value_kernel_unsortedILi1024EfEEviiiT0_21rocsparse_index_base_PS1_PKiS5_
    .private_segment_fixed_size: 0
    .sgpr_count:     18
    .sgpr_spill_count: 0
    .symbol:         _ZN9rocsparseL28bsrpad_value_kernel_unsortedILi1024EfEEviiiT0_21rocsparse_index_base_PS1_PKiS5_.kd
    .uniform_work_group_size: 1
    .uses_dynamic_stack: false
    .vgpr_count:     6
    .vgpr_spill_count: 0
    .wavefront_size: 32
    .workgroup_processor_mode: 1
  - .args:
      - .offset:         0
        .size:           4
        .value_kind:     by_value
      - .offset:         4
        .size:           4
        .value_kind:     by_value
      - .offset:         8
        .size:           4
        .value_kind:     by_value
      - .offset:         16
        .size:           8
        .value_kind:     by_value
      - .offset:         24
        .size:           4
        .value_kind:     by_value
      - .actual_access:  write_only
        .address_space:  global
        .offset:         32
        .size:           8
        .value_kind:     global_buffer
      - .actual_access:  read_only
        .address_space:  global
        .offset:         40
        .size:           8
        .value_kind:     global_buffer
      - .actual_access:  read_only
        .address_space:  global
        .offset:         48
        .size:           8
        .value_kind:     global_buffer
    .group_segment_fixed_size: 0
    .kernarg_segment_align: 8
    .kernarg_segment_size: 56
    .language:       OpenCL C
    .language_version:
      - 2
      - 0
    .max_flat_workgroup_size: 1024
    .name:           _ZN9rocsparseL26bsrpad_value_kernel_sortedILi1024EdEEviiiT0_21rocsparse_index_base_PS1_PKiS5_
    .private_segment_fixed_size: 0
    .sgpr_count:     18
    .sgpr_spill_count: 0
    .symbol:         _ZN9rocsparseL26bsrpad_value_kernel_sortedILi1024EdEEviiiT0_21rocsparse_index_base_PS1_PKiS5_.kd
    .uniform_work_group_size: 1
    .uses_dynamic_stack: false
    .vgpr_count:     4
    .vgpr_spill_count: 0
    .wavefront_size: 32
    .workgroup_processor_mode: 1
  - .args:
      - .offset:         0
        .size:           4
        .value_kind:     by_value
      - .offset:         4
        .size:           4
        .value_kind:     by_value
      - .offset:         8
        .size:           4
        .value_kind:     by_value
      - .offset:         16
        .size:           8
        .value_kind:     by_value
      - .offset:         24
        .size:           4
        .value_kind:     by_value
      - .actual_access:  write_only
        .address_space:  global
        .offset:         32
        .size:           8
        .value_kind:     global_buffer
      - .actual_access:  read_only
        .address_space:  global
        .offset:         40
        .size:           8
        .value_kind:     global_buffer
      - .actual_access:  read_only
        .address_space:  global
        .offset:         48
        .size:           8
        .value_kind:     global_buffer
    .group_segment_fixed_size: 4
    .kernarg_segment_align: 8
    .kernarg_segment_size: 56
    .language:       OpenCL C
    .language_version:
      - 2
      - 0
    .max_flat_workgroup_size: 1024
    .name:           _ZN9rocsparseL28bsrpad_value_kernel_unsortedILi1024EdEEviiiT0_21rocsparse_index_base_PS1_PKiS5_
    .private_segment_fixed_size: 0
    .sgpr_count:     18
    .sgpr_spill_count: 0
    .symbol:         _ZN9rocsparseL28bsrpad_value_kernel_unsortedILi1024EdEEviiiT0_21rocsparse_index_base_PS1_PKiS5_.kd
    .uniform_work_group_size: 1
    .uses_dynamic_stack: false
    .vgpr_count:     6
    .vgpr_spill_count: 0
    .wavefront_size: 32
    .workgroup_processor_mode: 1
  - .args:
      - .offset:         0
        .size:           4
        .value_kind:     by_value
      - .offset:         4
        .size:           4
        .value_kind:     by_value
      - .offset:         8
        .size:           4
        .value_kind:     by_value
      - .offset:         12
        .size:           8
        .value_kind:     by_value
      - .offset:         20
        .size:           4
        .value_kind:     by_value
      - .actual_access:  write_only
        .address_space:  global
        .offset:         24
        .size:           8
        .value_kind:     global_buffer
      - .actual_access:  read_only
        .address_space:  global
        .offset:         32
        .size:           8
        .value_kind:     global_buffer
      - .actual_access:  read_only
        .address_space:  global
        .offset:         40
        .size:           8
        .value_kind:     global_buffer
    .group_segment_fixed_size: 0
    .kernarg_segment_align: 8
    .kernarg_segment_size: 48
    .language:       OpenCL C
    .language_version:
      - 2
      - 0
    .max_flat_workgroup_size: 1024
    .name:           _ZN9rocsparseL26bsrpad_value_kernel_sortedILi1024E21rocsparse_complex_numIfEEEviiiT0_21rocsparse_index_base_PS3_PKiS7_
    .private_segment_fixed_size: 0
    .sgpr_count:     18
    .sgpr_spill_count: 0
    .symbol:         _ZN9rocsparseL26bsrpad_value_kernel_sortedILi1024E21rocsparse_complex_numIfEEEviiiT0_21rocsparse_index_base_PS3_PKiS7_.kd
    .uniform_work_group_size: 1
    .uses_dynamic_stack: false
    .vgpr_count:     4
    .vgpr_spill_count: 0
    .wavefront_size: 32
    .workgroup_processor_mode: 1
  - .args:
      - .offset:         0
        .size:           4
        .value_kind:     by_value
      - .offset:         4
        .size:           4
        .value_kind:     by_value
      - .offset:         8
        .size:           4
        .value_kind:     by_value
      - .offset:         12
        .size:           8
        .value_kind:     by_value
      - .offset:         20
        .size:           4
        .value_kind:     by_value
      - .actual_access:  write_only
        .address_space:  global
        .offset:         24
        .size:           8
        .value_kind:     global_buffer
      - .actual_access:  read_only
        .address_space:  global
        .offset:         32
        .size:           8
        .value_kind:     global_buffer
      - .actual_access:  read_only
        .address_space:  global
        .offset:         40
        .size:           8
        .value_kind:     global_buffer
    .group_segment_fixed_size: 4
    .kernarg_segment_align: 8
    .kernarg_segment_size: 48
    .language:       OpenCL C
    .language_version:
      - 2
      - 0
    .max_flat_workgroup_size: 1024
    .name:           _ZN9rocsparseL28bsrpad_value_kernel_unsortedILi1024E21rocsparse_complex_numIfEEEviiiT0_21rocsparse_index_base_PS3_PKiS7_
    .private_segment_fixed_size: 0
    .sgpr_count:     18
    .sgpr_spill_count: 0
    .symbol:         _ZN9rocsparseL28bsrpad_value_kernel_unsortedILi1024E21rocsparse_complex_numIfEEEviiiT0_21rocsparse_index_base_PS3_PKiS7_.kd
    .uniform_work_group_size: 1
    .uses_dynamic_stack: false
    .vgpr_count:     6
    .vgpr_spill_count: 0
    .wavefront_size: 32
    .workgroup_processor_mode: 1
  - .args:
      - .offset:         0
        .size:           4
        .value_kind:     by_value
      - .offset:         4
        .size:           4
        .value_kind:     by_value
      - .offset:         8
        .size:           4
        .value_kind:     by_value
      - .offset:         16
        .size:           16
        .value_kind:     by_value
      - .offset:         32
        .size:           4
        .value_kind:     by_value
      - .actual_access:  write_only
        .address_space:  global
        .offset:         40
        .size:           8
        .value_kind:     global_buffer
      - .actual_access:  read_only
        .address_space:  global
        .offset:         48
        .size:           8
        .value_kind:     global_buffer
      - .actual_access:  read_only
        .address_space:  global
        .offset:         56
        .size:           8
        .value_kind:     global_buffer
    .group_segment_fixed_size: 0
    .kernarg_segment_align: 8
    .kernarg_segment_size: 64
    .language:       OpenCL C
    .language_version:
      - 2
      - 0
    .max_flat_workgroup_size: 1024
    .name:           _ZN9rocsparseL26bsrpad_value_kernel_sortedILi1024E21rocsparse_complex_numIdEEEviiiT0_21rocsparse_index_base_PS3_PKiS7_
    .private_segment_fixed_size: 0
    .sgpr_count:     18
    .sgpr_spill_count: 0
    .symbol:         _ZN9rocsparseL26bsrpad_value_kernel_sortedILi1024E21rocsparse_complex_numIdEEEviiiT0_21rocsparse_index_base_PS3_PKiS7_.kd
    .uniform_work_group_size: 1
    .uses_dynamic_stack: false
    .vgpr_count:     6
    .vgpr_spill_count: 0
    .wavefront_size: 32
    .workgroup_processor_mode: 1
  - .args:
      - .offset:         0
        .size:           4
        .value_kind:     by_value
      - .offset:         4
        .size:           4
        .value_kind:     by_value
      - .offset:         8
        .size:           4
        .value_kind:     by_value
      - .offset:         16
        .size:           16
        .value_kind:     by_value
      - .offset:         32
        .size:           4
        .value_kind:     by_value
      - .actual_access:  write_only
        .address_space:  global
        .offset:         40
        .size:           8
        .value_kind:     global_buffer
      - .actual_access:  read_only
        .address_space:  global
        .offset:         48
        .size:           8
        .value_kind:     global_buffer
      - .actual_access:  read_only
        .address_space:  global
        .offset:         56
        .size:           8
        .value_kind:     global_buffer
    .group_segment_fixed_size: 4
    .kernarg_segment_align: 8
    .kernarg_segment_size: 64
    .language:       OpenCL C
    .language_version:
      - 2
      - 0
    .max_flat_workgroup_size: 1024
    .name:           _ZN9rocsparseL28bsrpad_value_kernel_unsortedILi1024E21rocsparse_complex_numIdEEEviiiT0_21rocsparse_index_base_PS3_PKiS7_
    .private_segment_fixed_size: 0
    .sgpr_count:     18
    .sgpr_spill_count: 0
    .symbol:         _ZN9rocsparseL28bsrpad_value_kernel_unsortedILi1024E21rocsparse_complex_numIdEEEviiiT0_21rocsparse_index_base_PS3_PKiS7_.kd
    .uniform_work_group_size: 1
    .uses_dynamic_stack: false
    .vgpr_count:     6
    .vgpr_spill_count: 0
    .wavefront_size: 32
    .workgroup_processor_mode: 1
amdhsa.target:   amdgcn-amd-amdhsa--gfx1100
amdhsa.version:
  - 1
  - 2
...

	.end_amdgpu_metadata
